;; amdgpu-corpus repo=ROCm/rocFFT kind=compiled arch=gfx1201 opt=O3
	.text
	.amdgcn_target "amdgcn-amd-amdhsa--gfx1201"
	.amdhsa_code_object_version 6
	.protected	fft_rtc_fwd_len2160_factors_10_6_6_6_wgs_60_tpt_60_halfLds_dp_ip_CI_sbrr_dirReg ; -- Begin function fft_rtc_fwd_len2160_factors_10_6_6_6_wgs_60_tpt_60_halfLds_dp_ip_CI_sbrr_dirReg
	.globl	fft_rtc_fwd_len2160_factors_10_6_6_6_wgs_60_tpt_60_halfLds_dp_ip_CI_sbrr_dirReg
	.p2align	8
	.type	fft_rtc_fwd_len2160_factors_10_6_6_6_wgs_60_tpt_60_halfLds_dp_ip_CI_sbrr_dirReg,@function
fft_rtc_fwd_len2160_factors_10_6_6_6_wgs_60_tpt_60_halfLds_dp_ip_CI_sbrr_dirReg: ; @fft_rtc_fwd_len2160_factors_10_6_6_6_wgs_60_tpt_60_halfLds_dp_ip_CI_sbrr_dirReg
; %bb.0:
	s_clause 0x2
	s_load_b64 s[12:13], s[0:1], 0x18
	s_load_b128 s[4:7], s[0:1], 0x0
	s_load_b64 s[10:11], s[0:1], 0x50
	v_mul_u32_u24_e32 v1, 0x445, v0
	v_mov_b32_e32 v3, 0
	s_delay_alu instid0(VALU_DEP_2) | instskip(NEXT) | instid1(VALU_DEP_1)
	v_lshrrev_b32_e32 v1, 16, v1
	v_add_nc_u32_e32 v5, ttmp9, v1
	v_mov_b32_e32 v1, 0
	v_mov_b32_e32 v2, 0
	;; [unrolled: 1-line block ×3, first 2 shown]
	s_wait_kmcnt 0x0
	s_load_b64 s[8:9], s[12:13], 0x0
	v_cmp_lt_u64_e64 s2, s[6:7], 2
	s_delay_alu instid0(VALU_DEP_1)
	s_and_b32 vcc_lo, exec_lo, s2
	s_cbranch_vccnz .LBB0_8
; %bb.1:
	s_load_b64 s[2:3], s[0:1], 0x10
	v_mov_b32_e32 v1, 0
	v_mov_b32_e32 v2, 0
	s_add_nc_u64 s[14:15], s[12:13], 8
	s_mov_b64 s[16:17], 1
	s_wait_kmcnt 0x0
	s_add_nc_u64 s[18:19], s[2:3], 8
	s_mov_b32 s3, 0
.LBB0_2:                                ; =>This Inner Loop Header: Depth=1
	s_load_b64 s[20:21], s[18:19], 0x0
                                        ; implicit-def: $vgpr7_vgpr8
	s_mov_b32 s2, exec_lo
	s_wait_kmcnt 0x0
	v_or_b32_e32 v4, s21, v6
	s_delay_alu instid0(VALU_DEP_1)
	v_cmpx_ne_u64_e32 0, v[3:4]
	s_wait_alu 0xfffe
	s_xor_b32 s22, exec_lo, s2
	s_cbranch_execz .LBB0_4
; %bb.3:                                ;   in Loop: Header=BB0_2 Depth=1
	s_cvt_f32_u32 s2, s20
	s_cvt_f32_u32 s23, s21
	s_sub_nc_u64 s[26:27], 0, s[20:21]
	s_wait_alu 0xfffe
	s_delay_alu instid0(SALU_CYCLE_1) | instskip(SKIP_1) | instid1(SALU_CYCLE_2)
	s_fmamk_f32 s2, s23, 0x4f800000, s2
	s_wait_alu 0xfffe
	v_s_rcp_f32 s2, s2
	s_delay_alu instid0(TRANS32_DEP_1) | instskip(SKIP_1) | instid1(SALU_CYCLE_2)
	s_mul_f32 s2, s2, 0x5f7ffffc
	s_wait_alu 0xfffe
	s_mul_f32 s23, s2, 0x2f800000
	s_wait_alu 0xfffe
	s_delay_alu instid0(SALU_CYCLE_2) | instskip(SKIP_1) | instid1(SALU_CYCLE_2)
	s_trunc_f32 s23, s23
	s_wait_alu 0xfffe
	s_fmamk_f32 s2, s23, 0xcf800000, s2
	s_cvt_u32_f32 s25, s23
	s_wait_alu 0xfffe
	s_delay_alu instid0(SALU_CYCLE_1) | instskip(SKIP_1) | instid1(SALU_CYCLE_2)
	s_cvt_u32_f32 s24, s2
	s_wait_alu 0xfffe
	s_mul_u64 s[28:29], s[26:27], s[24:25]
	s_wait_alu 0xfffe
	s_mul_hi_u32 s31, s24, s29
	s_mul_i32 s30, s24, s29
	s_mul_hi_u32 s2, s24, s28
	s_mul_i32 s33, s25, s28
	s_wait_alu 0xfffe
	s_add_nc_u64 s[30:31], s[2:3], s[30:31]
	s_mul_hi_u32 s23, s25, s28
	s_mul_hi_u32 s34, s25, s29
	s_add_co_u32 s2, s30, s33
	s_wait_alu 0xfffe
	s_add_co_ci_u32 s2, s31, s23
	s_mul_i32 s28, s25, s29
	s_add_co_ci_u32 s29, s34, 0
	s_wait_alu 0xfffe
	s_add_nc_u64 s[28:29], s[2:3], s[28:29]
	s_wait_alu 0xfffe
	v_add_co_u32 v4, s2, s24, s28
	s_delay_alu instid0(VALU_DEP_1) | instskip(SKIP_1) | instid1(VALU_DEP_1)
	s_cmp_lg_u32 s2, 0
	s_add_co_ci_u32 s25, s25, s29
	v_readfirstlane_b32 s24, v4
	s_wait_alu 0xfffe
	s_delay_alu instid0(VALU_DEP_1)
	s_mul_u64 s[26:27], s[26:27], s[24:25]
	s_wait_alu 0xfffe
	s_mul_hi_u32 s29, s24, s27
	s_mul_i32 s28, s24, s27
	s_mul_hi_u32 s2, s24, s26
	s_mul_i32 s30, s25, s26
	s_wait_alu 0xfffe
	s_add_nc_u64 s[28:29], s[2:3], s[28:29]
	s_mul_hi_u32 s23, s25, s26
	s_mul_hi_u32 s24, s25, s27
	s_wait_alu 0xfffe
	s_add_co_u32 s2, s28, s30
	s_add_co_ci_u32 s2, s29, s23
	s_mul_i32 s26, s25, s27
	s_add_co_ci_u32 s27, s24, 0
	s_wait_alu 0xfffe
	s_add_nc_u64 s[26:27], s[2:3], s[26:27]
	s_wait_alu 0xfffe
	v_add_co_u32 v4, s2, v4, s26
	s_delay_alu instid0(VALU_DEP_1) | instskip(SKIP_1) | instid1(VALU_DEP_1)
	s_cmp_lg_u32 s2, 0
	s_add_co_ci_u32 s2, s25, s27
	v_mul_hi_u32 v13, v5, v4
	s_wait_alu 0xfffe
	v_mad_co_u64_u32 v[7:8], null, v5, s2, 0
	v_mad_co_u64_u32 v[9:10], null, v6, v4, 0
	;; [unrolled: 1-line block ×3, first 2 shown]
	s_delay_alu instid0(VALU_DEP_3) | instskip(SKIP_1) | instid1(VALU_DEP_4)
	v_add_co_u32 v4, vcc_lo, v13, v7
	s_wait_alu 0xfffd
	v_add_co_ci_u32_e32 v7, vcc_lo, 0, v8, vcc_lo
	s_delay_alu instid0(VALU_DEP_2) | instskip(SKIP_1) | instid1(VALU_DEP_2)
	v_add_co_u32 v4, vcc_lo, v4, v9
	s_wait_alu 0xfffd
	v_add_co_ci_u32_e32 v4, vcc_lo, v7, v10, vcc_lo
	s_wait_alu 0xfffd
	v_add_co_ci_u32_e32 v7, vcc_lo, 0, v12, vcc_lo
	s_delay_alu instid0(VALU_DEP_2) | instskip(SKIP_1) | instid1(VALU_DEP_2)
	v_add_co_u32 v4, vcc_lo, v4, v11
	s_wait_alu 0xfffd
	v_add_co_ci_u32_e32 v9, vcc_lo, 0, v7, vcc_lo
	s_delay_alu instid0(VALU_DEP_2) | instskip(SKIP_1) | instid1(VALU_DEP_3)
	v_mul_lo_u32 v10, s21, v4
	v_mad_co_u64_u32 v[7:8], null, s20, v4, 0
	v_mul_lo_u32 v11, s20, v9
	s_delay_alu instid0(VALU_DEP_2) | instskip(NEXT) | instid1(VALU_DEP_2)
	v_sub_co_u32 v7, vcc_lo, v5, v7
	v_add3_u32 v8, v8, v11, v10
	s_delay_alu instid0(VALU_DEP_1) | instskip(SKIP_1) | instid1(VALU_DEP_1)
	v_sub_nc_u32_e32 v10, v6, v8
	s_wait_alu 0xfffd
	v_subrev_co_ci_u32_e64 v10, s2, s21, v10, vcc_lo
	v_add_co_u32 v11, s2, v4, 2
	s_wait_alu 0xf1ff
	v_add_co_ci_u32_e64 v12, s2, 0, v9, s2
	v_sub_co_u32 v13, s2, v7, s20
	v_sub_co_ci_u32_e32 v8, vcc_lo, v6, v8, vcc_lo
	s_wait_alu 0xf1ff
	v_subrev_co_ci_u32_e64 v10, s2, 0, v10, s2
	s_delay_alu instid0(VALU_DEP_3) | instskip(NEXT) | instid1(VALU_DEP_3)
	v_cmp_le_u32_e32 vcc_lo, s20, v13
	v_cmp_eq_u32_e64 s2, s21, v8
	s_wait_alu 0xfffd
	v_cndmask_b32_e64 v13, 0, -1, vcc_lo
	v_cmp_le_u32_e32 vcc_lo, s21, v10
	s_wait_alu 0xfffd
	v_cndmask_b32_e64 v14, 0, -1, vcc_lo
	v_cmp_le_u32_e32 vcc_lo, s20, v7
	;; [unrolled: 3-line block ×3, first 2 shown]
	s_wait_alu 0xfffd
	v_cndmask_b32_e64 v15, 0, -1, vcc_lo
	v_cmp_eq_u32_e32 vcc_lo, s21, v10
	s_wait_alu 0xf1ff
	s_delay_alu instid0(VALU_DEP_2)
	v_cndmask_b32_e64 v7, v15, v7, s2
	s_wait_alu 0xfffd
	v_cndmask_b32_e32 v10, v14, v13, vcc_lo
	v_add_co_u32 v13, vcc_lo, v4, 1
	s_wait_alu 0xfffd
	v_add_co_ci_u32_e32 v14, vcc_lo, 0, v9, vcc_lo
	s_delay_alu instid0(VALU_DEP_3) | instskip(SKIP_2) | instid1(VALU_DEP_3)
	v_cmp_ne_u32_e32 vcc_lo, 0, v10
	s_wait_alu 0xfffd
	v_cndmask_b32_e32 v10, v13, v11, vcc_lo
	v_cndmask_b32_e32 v8, v14, v12, vcc_lo
	v_cmp_ne_u32_e32 vcc_lo, 0, v7
	s_wait_alu 0xfffd
	s_delay_alu instid0(VALU_DEP_2)
	v_dual_cndmask_b32 v7, v4, v10 :: v_dual_cndmask_b32 v8, v9, v8
.LBB0_4:                                ;   in Loop: Header=BB0_2 Depth=1
	s_wait_alu 0xfffe
	s_and_not1_saveexec_b32 s2, s22
	s_cbranch_execz .LBB0_6
; %bb.5:                                ;   in Loop: Header=BB0_2 Depth=1
	v_cvt_f32_u32_e32 v4, s20
	s_sub_co_i32 s22, 0, s20
	s_delay_alu instid0(VALU_DEP_1) | instskip(NEXT) | instid1(TRANS32_DEP_1)
	v_rcp_iflag_f32_e32 v4, v4
	v_mul_f32_e32 v4, 0x4f7ffffe, v4
	s_delay_alu instid0(VALU_DEP_1) | instskip(SKIP_1) | instid1(VALU_DEP_1)
	v_cvt_u32_f32_e32 v4, v4
	s_wait_alu 0xfffe
	v_mul_lo_u32 v7, s22, v4
	s_delay_alu instid0(VALU_DEP_1) | instskip(NEXT) | instid1(VALU_DEP_1)
	v_mul_hi_u32 v7, v4, v7
	v_add_nc_u32_e32 v4, v4, v7
	s_delay_alu instid0(VALU_DEP_1) | instskip(NEXT) | instid1(VALU_DEP_1)
	v_mul_hi_u32 v4, v5, v4
	v_mul_lo_u32 v7, v4, s20
	v_add_nc_u32_e32 v8, 1, v4
	s_delay_alu instid0(VALU_DEP_2) | instskip(NEXT) | instid1(VALU_DEP_1)
	v_sub_nc_u32_e32 v7, v5, v7
	v_subrev_nc_u32_e32 v9, s20, v7
	v_cmp_le_u32_e32 vcc_lo, s20, v7
	s_wait_alu 0xfffd
	s_delay_alu instid0(VALU_DEP_2) | instskip(NEXT) | instid1(VALU_DEP_1)
	v_dual_cndmask_b32 v7, v7, v9 :: v_dual_cndmask_b32 v4, v4, v8
	v_cmp_le_u32_e32 vcc_lo, s20, v7
	s_delay_alu instid0(VALU_DEP_2) | instskip(SKIP_1) | instid1(VALU_DEP_1)
	v_add_nc_u32_e32 v8, 1, v4
	s_wait_alu 0xfffd
	v_dual_cndmask_b32 v7, v4, v8 :: v_dual_mov_b32 v8, v3
.LBB0_6:                                ;   in Loop: Header=BB0_2 Depth=1
	s_wait_alu 0xfffe
	s_or_b32 exec_lo, exec_lo, s2
	s_load_b64 s[22:23], s[14:15], 0x0
	s_delay_alu instid0(VALU_DEP_1)
	v_mul_lo_u32 v4, v8, s20
	v_mul_lo_u32 v11, v7, s21
	v_mad_co_u64_u32 v[9:10], null, v7, s20, 0
	s_add_nc_u64 s[16:17], s[16:17], 1
	s_add_nc_u64 s[14:15], s[14:15], 8
	s_wait_alu 0xfffe
	v_cmp_ge_u64_e64 s2, s[16:17], s[6:7]
	s_add_nc_u64 s[18:19], s[18:19], 8
	s_delay_alu instid0(VALU_DEP_2) | instskip(NEXT) | instid1(VALU_DEP_3)
	v_add3_u32 v4, v10, v11, v4
	v_sub_co_u32 v5, vcc_lo, v5, v9
	s_wait_alu 0xfffd
	s_delay_alu instid0(VALU_DEP_2) | instskip(SKIP_3) | instid1(VALU_DEP_2)
	v_sub_co_ci_u32_e32 v4, vcc_lo, v6, v4, vcc_lo
	s_and_b32 vcc_lo, exec_lo, s2
	s_wait_kmcnt 0x0
	v_mul_lo_u32 v6, s23, v5
	v_mul_lo_u32 v4, s22, v4
	v_mad_co_u64_u32 v[1:2], null, s22, v5, v[1:2]
	s_delay_alu instid0(VALU_DEP_1)
	v_add3_u32 v2, v6, v2, v4
	s_wait_alu 0xfffe
	s_cbranch_vccnz .LBB0_9
; %bb.7:                                ;   in Loop: Header=BB0_2 Depth=1
	v_dual_mov_b32 v5, v7 :: v_dual_mov_b32 v6, v8
	s_branch .LBB0_2
.LBB0_8:
	v_dual_mov_b32 v8, v6 :: v_dual_mov_b32 v7, v5
.LBB0_9:
	s_lshl_b64 s[2:3], s[6:7], 3
	v_mul_hi_u32 v3, 0x4444445, v0
	s_wait_alu 0xfffe
	s_add_nc_u64 s[2:3], s[12:13], s[2:3]
                                        ; implicit-def: $vgpr204
                                        ; implicit-def: $vgpr201
	s_load_b64 s[2:3], s[2:3], 0x0
	s_load_b64 s[0:1], s[0:1], 0x20
	s_delay_alu instid0(VALU_DEP_1) | instskip(NEXT) | instid1(VALU_DEP_1)
	v_mul_u32_u24_e32 v3, 60, v3
	v_sub_nc_u32_e32 v194, v0, v3
	s_delay_alu instid0(VALU_DEP_1)
	v_add_nc_u32_e32 v255, 0x78, v194
	s_wait_kmcnt 0x0
	v_mul_lo_u32 v4, s2, v8
	v_mul_lo_u32 v5, s3, v7
	v_mad_co_u64_u32 v[1:2], null, s2, v7, v[1:2]
	v_cmp_gt_u64_e32 vcc_lo, s[0:1], v[7:8]
	v_cmp_le_u64_e64 s0, s[0:1], v[7:8]
	s_delay_alu instid0(VALU_DEP_3) | instskip(NEXT) | instid1(VALU_DEP_2)
	v_add3_u32 v2, v5, v2, v4
	s_and_saveexec_b32 s1, s0
	s_wait_alu 0xfffe
	s_xor_b32 s0, exec_lo, s1
; %bb.10:
	v_add_nc_u32_e32 v204, 60, v194
	v_add_nc_u32_e32 v201, 0x78, v194
; %bb.11:
	s_wait_alu 0xfffe
	s_or_saveexec_b32 s1, s0
	v_lshlrev_b64_e32 v[0:1], 4, v[1:2]
                                        ; implicit-def: $vgpr54_vgpr55
                                        ; implicit-def: $vgpr50_vgpr51
                                        ; implicit-def: $vgpr66_vgpr67
                                        ; implicit-def: $vgpr58_vgpr59
                                        ; implicit-def: $vgpr86_vgpr87
                                        ; implicit-def: $vgpr82_vgpr83
                                        ; implicit-def: $vgpr38_vgpr39
                                        ; implicit-def: $vgpr34_vgpr35
                                        ; implicit-def: $vgpr30_vgpr31
                                        ; implicit-def: $vgpr26_vgpr27
                                        ; implicit-def: $vgpr62_vgpr63
                                        ; implicit-def: $vgpr70_vgpr71
                                        ; implicit-def: $vgpr98_vgpr99
                                        ; implicit-def: $vgpr102_vgpr103
                                        ; implicit-def: $vgpr130_vgpr131
                                        ; implicit-def: $vgpr118_vgpr119
                                        ; implicit-def: $vgpr150_vgpr151
                                        ; implicit-def: $vgpr114_vgpr115
                                        ; implicit-def: $vgpr146_vgpr147
                                        ; implicit-def: $vgpr138_vgpr139
                                        ; implicit-def: $vgpr74_vgpr75
                                        ; implicit-def: $vgpr78_vgpr79
                                        ; implicit-def: $vgpr106_vgpr107
                                        ; implicit-def: $vgpr110_vgpr111
                                        ; implicit-def: $vgpr134_vgpr135
                                        ; implicit-def: $vgpr126_vgpr127
                                        ; implicit-def: $vgpr158_vgpr159
                                        ; implicit-def: $vgpr122_vgpr123
                                        ; implicit-def: $vgpr154_vgpr155
                                        ; implicit-def: $vgpr142_vgpr143
                                        ; implicit-def: $vgpr42_vgpr43
                                        ; implicit-def: $vgpr46_vgpr47
                                        ; implicit-def: $vgpr90_vgpr91
                                        ; implicit-def: $vgpr94_vgpr95
                                        ; implicit-def: $vgpr18_vgpr19
                                        ; implicit-def: $vgpr22_vgpr23
                                        ; implicit-def: $vgpr14_vgpr15
                                        ; implicit-def: $vgpr2_vgpr3
                                        ; implicit-def: $vgpr10_vgpr11
                                        ; implicit-def: $vgpr6_vgpr7
	scratch_store_b64 off, v[0:1], off      ; 8-byte Folded Spill
	s_wait_alu 0xfffe
	s_xor_b32 exec_lo, exec_lo, s1
	s_cbranch_execz .LBB0_15
; %bb.12:
	v_add_nc_u32_e32 v12, 0x288, v194
	v_mad_co_u64_u32 v[0:1], null, s8, v194, 0
	v_add_nc_u32_e32 v21, 0x510, v194
	v_add_nc_u32_e32 v11, 0x1b0, v194
	s_delay_alu instid0(VALU_DEP_4) | instskip(SKIP_1) | instid1(VALU_DEP_4)
	v_mad_co_u64_u32 v[7:8], null, s8, v12, 0
	v_add_nc_u32_e32 v9, 0xd8, v194
	v_mad_co_u64_u32 v[24:25], null, s8, v21, 0
	v_add_nc_u32_e32 v13, 0x360, v194
	v_or_b32_e32 v33, 0x6c0, v194
	s_delay_alu instid0(VALU_DEP_4) | instskip(SKIP_1) | instid1(VALU_DEP_4)
	v_mad_co_u64_u32 v[2:3], null, s8, v9, 0
	v_add_nc_u32_e32 v35, 0x798, v194
	v_mad_co_u64_u32 v[16:17], null, s8, v13, 0
	s_delay_alu instid0(VALU_DEP_4)
	v_mad_co_u64_u32 v[28:29], null, s8, v33, 0
	v_add_nc_u32_e32 v37, 60, v194
	v_mad_co_u64_u32 v[4:5], null, s9, v194, v[1:2]
	v_mov_b32_e32 v1, v3
	v_mad_co_u64_u32 v[5:6], null, s8, v11, 0
	v_add_nc_u32_e32 v39, 0x114, v194
	v_add_nc_u32_e32 v41, 0x1ec, v194
	s_delay_alu instid0(VALU_DEP_4)
	v_mad_co_u64_u32 v[9:10], null, s9, v9, v[1:2]
	v_mov_b32_e32 v1, v4
	scratch_load_b64 v[3:4], off, off       ; 8-byte Folded Reload
	s_mov_b32 s2, exec_lo
	v_add_nc_u32_e32 v22, 0x5e8, v194
	v_add_nc_u32_e32 v44, 0x2c4, v194
	;; [unrolled: 1-line block ×5, first 2 shown]
	v_mad_co_u64_u32 v[26:27], null, s8, v22, 0
	s_delay_alu instid0(VALU_DEP_3)
	v_mad_co_u64_u32 v[48:49], null, s8, v55, 0
	s_wait_loadcnt 0x0
	v_add_co_u32 v50, s0, s10, v3
	s_wait_alu 0xf1ff
	v_add_co_ci_u32_e64 v51, s0, s11, v4, s0
	v_dual_mov_b32 v3, v6 :: v_dual_mov_b32 v4, v8
	s_delay_alu instid0(VALU_DEP_1) | instskip(SKIP_3) | instid1(VALU_DEP_3)
	v_mad_co_u64_u32 v[10:11], null, s9, v11, v[3:4]
	v_mov_b32_e32 v3, v9
	v_add_nc_u32_e32 v11, 0x438, v194
	v_mad_co_u64_u32 v[8:9], null, s9, v12, v[4:5]
	v_lshlrev_b64_e32 v[2:3], 4, v[2:3]
	v_mov_b32_e32 v6, v10
	s_delay_alu instid0(VALU_DEP_4) | instskip(NEXT) | instid1(VALU_DEP_4)
	v_mad_co_u64_u32 v[18:19], null, s8, v11, 0
	v_lshlrev_b64_e32 v[7:8], 4, v[7:8]
	s_delay_alu instid0(VALU_DEP_3) | instskip(SKIP_2) | instid1(VALU_DEP_1)
	v_lshlrev_b64_e32 v[4:5], 4, v[5:6]
	v_mov_b32_e32 v6, v17
	v_lshlrev_b64_e32 v[0:1], 4, v[0:1]
	v_add_co_u32 v0, s0, v50, v0
	s_wait_alu 0xf1ff
	s_delay_alu instid0(VALU_DEP_2)
	v_add_co_ci_u32_e64 v1, s0, v51, v1, s0
	v_add_co_u32 v2, s0, v50, v2
	s_wait_alu 0xf1ff
	v_add_co_ci_u32_e64 v3, s0, v51, v3, s0
	v_add_co_u32 v12, s0, v50, v4
	v_mov_b32_e32 v4, v19
	s_delay_alu instid0(VALU_DEP_1) | instskip(SKIP_4) | instid1(VALU_DEP_3)
	v_mad_co_u64_u32 v[19:20], null, s9, v11, v[4:5]
	v_mov_b32_e32 v20, v25
	v_mad_co_u64_u32 v[9:10], null, s9, v13, v[6:7]
	s_wait_alu 0xf1ff
	v_add_co_ci_u32_e64 v13, s0, v51, v5, s0
	v_mad_co_u64_u32 v[20:21], null, s9, v21, v[20:21]
	v_mov_b32_e32 v21, v27
	v_mov_b32_e32 v27, v29
	v_add_co_u32 v14, s0, v50, v7
	v_lshlrev_b64_e32 v[18:19], 4, v[18:19]
	s_delay_alu instid0(VALU_DEP_4) | instskip(SKIP_4) | instid1(VALU_DEP_3)
	v_mad_co_u64_u32 v[30:31], null, s9, v22, v[21:22]
	v_mad_co_u64_u32 v[31:32], null, s8, v35, 0
	;; [unrolled: 1-line block ×3, first 2 shown]
	s_wait_alu 0xf1ff
	v_add_co_ci_u32_e64 v15, s0, v51, v8, s0
	v_dual_mov_b32 v27, v30 :: v_dual_mov_b32 v30, v32
	s_delay_alu instid0(VALU_DEP_3) | instskip(SKIP_1) | instid1(VALU_DEP_3)
	v_mov_b32_e32 v29, v33
	v_mad_co_u64_u32 v[33:34], null, s8, v37, 0
	v_mad_co_u64_u32 v[35:36], null, s9, v35, v[30:31]
	v_mov_b32_e32 v17, v9
	s_delay_alu instid0(VALU_DEP_4)
	v_lshlrev_b64_e32 v[28:29], 4, v[28:29]
	s_clause 0x3
	global_load_b128 v[4:7], v[0:1], off
	global_load_b128 v[8:11], v[2:3], off
	;; [unrolled: 1-line block ×4, first 2 shown]
	v_mov_b32_e32 v30, v34
	v_mov_b32_e32 v32, v35
	v_mad_co_u64_u32 v[35:36], null, s8, v39, 0
	s_delay_alu instid0(VALU_DEP_3) | instskip(NEXT) | instid1(VALU_DEP_3)
	v_mad_co_u64_u32 v[37:38], null, s9, v37, v[30:31]
	v_lshlrev_b64_e32 v[30:31], 4, v[31:32]
	v_lshlrev_b64_e32 v[16:17], 4, v[16:17]
	s_delay_alu instid0(VALU_DEP_4) | instskip(NEXT) | instid1(VALU_DEP_4)
	v_dual_mov_b32 v25, v20 :: v_dual_mov_b32 v32, v36
	v_mov_b32_e32 v34, v37
	v_mad_co_u64_u32 v[37:38], null, s8, v41, 0
	s_delay_alu instid0(VALU_DEP_3)
	v_mad_co_u64_u32 v[39:40], null, s9, v39, v[32:33]
	v_add_co_u32 v16, s0, v50, v16
	v_lshlrev_b64_e32 v[24:25], 4, v[24:25]
	s_wait_alu 0xf1ff
	v_add_co_ci_u32_e64 v17, s0, v51, v17, s0
	v_lshlrev_b64_e32 v[32:33], 4, v[33:34]
	v_mov_b32_e32 v36, v39
	v_mad_co_u64_u32 v[39:40], null, s8, v44, 0
	v_mov_b32_e32 v34, v38
	v_add_co_u32 v18, s0, v50, v18
	v_lshlrev_b64_e32 v[26:27], 4, v[26:27]
	s_wait_alu 0xf1ff
	v_add_co_ci_u32_e64 v19, s0, v51, v19, s0
	v_add_co_u32 v24, s0, v50, v24
	v_mad_co_u64_u32 v[41:42], null, s9, v41, v[34:35]
	v_lshlrev_b64_e32 v[35:36], 4, v[35:36]
	s_wait_alu 0xf1ff
	v_add_co_ci_u32_e64 v25, s0, v51, v25, s0
	v_mov_b32_e32 v34, v40
	v_add_co_u32 v26, s0, v50, v26
	s_wait_alu 0xf1ff
	v_add_co_ci_u32_e64 v27, s0, v51, v27, s0
	v_add_co_u32 v28, s0, v50, v28
	v_mad_co_u64_u32 v[44:45], null, s9, v44, v[34:35]
	s_wait_alu 0xf1ff
	v_add_co_ci_u32_e64 v29, s0, v51, v29, s0
	v_add_co_u32 v30, s0, v50, v30
	v_mad_co_u64_u32 v[42:43], null, s8, v46, 0
	s_wait_alu 0xf1ff
	v_add_co_ci_u32_e64 v31, s0, v51, v31, s0
	v_add_co_u32 v32, s0, v50, v32
	v_mov_b32_e32 v38, v41
	s_wait_alu 0xf1ff
	v_add_co_ci_u32_e64 v33, s0, v51, v33, s0
	v_add_co_u32 v34, s0, v50, v35
	v_dual_mov_b32 v40, v44 :: v_dual_add_nc_u32 v41, 0x474, v194
	s_wait_alu 0xf1ff
	v_add_co_ci_u32_e64 v35, s0, v51, v36, s0
	v_lshlrev_b64_e32 v[36:37], 4, v[37:38]
	v_mov_b32_e32 v38, v43
	v_mad_co_u64_u32 v[44:45], null, s8, v41, 0
	s_clause 0x3
	global_load_b128 v[20:23], v[16:17], off
	global_load_b128 v[16:19], v[18:19], off
	global_load_b128 v[92:95], v[24:25], off
	global_load_b128 v[88:91], v[26:27], off
	v_mad_co_u64_u32 v[46:47], null, s9, v46, v[38:39]
	v_add_nc_u32_e32 v52, 0x54c, v194
	v_lshlrev_b64_e32 v[38:39], 4, v[39:40]
	v_mov_b32_e32 v40, v45
	v_add_co_u32 v36, s0, v50, v36
	s_wait_alu 0xf1ff
	v_add_co_ci_u32_e64 v37, s0, v51, v37, s0
	v_mov_b32_e32 v43, v46
	v_mad_co_u64_u32 v[46:47], null, s8, v52, 0
	v_mad_co_u64_u32 v[40:41], null, s9, v41, v[40:41]
	s_delay_alu instid0(VALU_DEP_3)
	v_lshlrev_b64_e32 v[41:42], 4, v[42:43]
	v_add_co_u32 v38, s0, v50, v38
	s_wait_alu 0xf1ff
	v_add_co_ci_u32_e64 v39, s0, v51, v39, s0
	v_mov_b32_e32 v43, v47
	v_mov_b32_e32 v45, v40
	s_delay_alu instid0(VALU_DEP_2)
	v_mad_co_u64_u32 v[52:53], null, s9, v52, v[43:44]
	v_add_co_u32 v53, s0, v50, v41
	s_wait_alu 0xf1ff
	v_add_co_ci_u32_e64 v54, s0, v51, v42, s0
	v_mov_b32_e32 v42, v49
	v_lshlrev_b64_e32 v[40:41], 4, v[44:45]
	v_mad_co_u64_u32 v[43:44], null, s8, v58, 0
	v_dual_mov_b32 v47, v52 :: v_dual_add_nc_u32 v52, 0x7d4, v194
	s_delay_alu instid0(VALU_DEP_2) | instskip(NEXT) | instid1(VALU_DEP_4)
	v_mad_co_u64_u32 v[55:56], null, s9, v55, v[42:43]
	v_add_co_u32 v56, s0, v50, v40
	s_wait_alu 0xf1ff
	v_add_co_ci_u32_e64 v57, s0, v51, v41, s0
	v_lshlrev_b64_e32 v[41:42], 4, v[46:47]
	s_delay_alu instid0(VALU_DEP_4) | instskip(SKIP_2) | instid1(VALU_DEP_3)
	v_dual_mov_b32 v40, v44 :: v_dual_mov_b32 v49, v55
	v_mad_co_u64_u32 v[45:46], null, s8, v52, 0
	v_add_nc_u32_e32 v55, 0x3d8, v194
	v_mad_co_u64_u32 v[58:59], null, s9, v58, v[40:41]
	v_add_co_u32 v59, s0, v50, v41
	s_wait_alu 0xf1ff
	v_add_co_ci_u32_e64 v60, s0, v51, v42, s0
	v_mov_b32_e32 v42, v46
	v_lshlrev_b64_e32 v[40:41], 4, v[48:49]
	v_mov_b32_e32 v44, v58
	v_mad_co_u64_u32 v[47:48], null, s8, v255, 0
	s_delay_alu instid0(VALU_DEP_4)
	v_mad_co_u64_u32 v[61:62], null, s9, v52, v[42:43]
	v_add_nc_u32_e32 v52, 0x150, v194
	v_add_co_u32 v62, s0, v50, v40
	s_wait_alu 0xf1ff
	v_add_co_ci_u32_e64 v63, s0, v51, v41, s0
	v_lshlrev_b64_e32 v[40:41], 4, v[43:44]
	v_mad_co_u64_u32 v[43:44], null, s8, v52, 0
	v_mov_b32_e32 v42, v48
	v_mov_b32_e32 v46, v61
	s_delay_alu instid0(VALU_DEP_4)
	v_add_co_u32 v64, s0, v50, v40
	s_wait_alu 0xf1ff
	v_add_co_ci_u32_e64 v65, s0, v51, v41, s0
	v_mad_co_u64_u32 v[48:49], null, s9, v255, v[42:43]
	v_dual_mov_b32 v42, v44 :: v_dual_add_nc_u32 v49, 0x228, v194
	v_lshlrev_b64_e32 v[40:41], 4, v[45:46]
	s_delay_alu instid0(VALU_DEP_2) | instskip(NEXT) | instid1(VALU_DEP_3)
	v_mad_co_u64_u32 v[45:46], null, s8, v49, 0
	v_mad_co_u64_u32 v[66:67], null, s9, v52, v[42:43]
	s_delay_alu instid0(VALU_DEP_3) | instskip(SKIP_1) | instid1(VALU_DEP_4)
	v_add_co_u32 v67, s0, v50, v40
	s_wait_alu 0xf1ff
	v_add_co_ci_u32_e64 v68, s0, v51, v41, s0
	v_lshlrev_b64_e32 v[40:41], 4, v[47:48]
	v_mov_b32_e32 v42, v46
	v_or_b32_e32 v52, 0x300, v194
	v_mov_b32_e32 v44, v66
	s_delay_alu instid0(VALU_DEP_3) | instskip(SKIP_1) | instid1(VALU_DEP_4)
	v_mad_co_u64_u32 v[69:70], null, s9, v49, v[42:43]
	v_add_co_u32 v70, s0, v50, v40
	v_mad_co_u64_u32 v[47:48], null, s8, v52, 0
	s_wait_alu 0xf1ff
	v_add_co_ci_u32_e64 v71, s0, v51, v41, s0
	v_lshlrev_b64_e32 v[41:42], 4, v[43:44]
	v_mad_co_u64_u32 v[43:44], null, s8, v55, 0
	v_mov_b32_e32 v46, v69
	v_mov_b32_e32 v40, v48
	s_delay_alu instid0(VALU_DEP_4)
	v_add_co_u32 v80, s0, v50, v41
	s_wait_alu 0xf1ff
	v_add_co_ci_u32_e64 v81, s0, v51, v42, s0
	v_mov_b32_e32 v42, v44
	v_add_nc_u32_e32 v44, 0x4b0, v194
	v_mad_co_u64_u32 v[48:49], null, s9, v52, v[40:41]
	v_lshlrev_b64_e32 v[40:41], 4, v[45:46]
	v_add_nc_u32_e32 v49, 0x588, v194
	s_delay_alu instid0(VALU_DEP_4) | instskip(SKIP_1) | instid1(VALU_DEP_4)
	v_mad_co_u64_u32 v[45:46], null, s8, v44, 0
	v_mad_co_u64_u32 v[72:73], null, s9, v55, v[42:43]
	v_add_co_u32 v82, s0, v50, v40
	s_wait_alu 0xf1ff
	v_add_co_ci_u32_e64 v83, s0, v51, v41, s0
	v_lshlrev_b64_e32 v[41:42], 4, v[47:48]
	v_mov_b32_e32 v40, v46
	v_mad_co_u64_u32 v[47:48], null, s8, v49, 0
	v_add_nc_u32_e32 v55, 0x738, v194
	v_add_nc_u32_e32 v52, 0x660, v194
	s_delay_alu instid0(VALU_DEP_4)
	v_mad_co_u64_u32 v[73:74], null, s9, v44, v[40:41]
	v_add_co_u32 v84, s0, v50, v41
	v_mov_b32_e32 v44, v72
	s_wait_alu 0xf1ff
	v_add_co_ci_u32_e64 v85, s0, v51, v42, s0
	v_mov_b32_e32 v42, v48
	v_mov_b32_e32 v46, v73
	v_lshlrev_b64_e32 v[40:41], 4, v[43:44]
	v_mad_co_u64_u32 v[72:73], null, s8, v55, 0
	s_delay_alu instid0(VALU_DEP_4) | instskip(SKIP_3) | instid1(VALU_DEP_3)
	v_mad_co_u64_u32 v[42:43], null, s9, v49, v[42:43]
	v_add_nc_u32_e32 v49, 0x810, v194
	v_mad_co_u64_u32 v[43:44], null, s8, v52, 0
	v_add_co_u32 v86, s0, v50, v40
	v_mad_co_u64_u32 v[74:75], null, s8, v49, 0
	v_mov_b32_e32 v48, v42
	v_mov_b32_e32 v42, v73
	s_wait_alu 0xf1ff
	v_add_co_ci_u32_e64 v87, s0, v51, v41, s0
	v_lshlrev_b64_e32 v[40:41], 4, v[45:46]
	v_mad_co_u64_u32 v[44:45], null, s9, v52, v[44:45]
	v_mad_co_u64_u32 v[45:46], null, s9, v55, v[42:43]
	v_mov_b32_e32 v42, v75
	s_delay_alu instid0(VALU_DEP_4) | instskip(SKIP_2) | instid1(VALU_DEP_3)
	v_add_co_u32 v96, s0, v50, v40
	s_wait_alu 0xf1ff
	v_add_co_ci_u32_e64 v97, s0, v51, v41, s0
	v_mad_co_u64_u32 v[24:25], null, s9, v49, v[42:43]
	v_lshlrev_b64_e32 v[40:41], 4, v[47:48]
	v_mov_b32_e32 v73, v45
	v_lshlrev_b64_e32 v[48:49], 4, v[43:44]
	s_delay_alu instid0(VALU_DEP_4) | instskip(NEXT) | instid1(VALU_DEP_4)
	v_mov_b32_e32 v75, v24
	v_add_co_u32 v25, s0, v50, v40
	s_wait_alu 0xf1ff
	v_add_co_ci_u32_e64 v26, s0, v51, v41, s0
	s_clause 0x1
	global_load_b128 v[44:47], v[28:29], off
	global_load_b128 v[40:43], v[30:31], off
	v_lshlrev_b64_e32 v[27:28], 4, v[72:73]
	v_add_co_u32 v29, s0, v50, v48
	s_wait_alu 0xf1ff
	v_add_co_ci_u32_e64 v30, s0, v51, v49, s0
	v_lshlrev_b64_e32 v[48:49], 4, v[74:75]
	s_delay_alu instid0(VALU_DEP_4) | instskip(SKIP_2) | instid1(VALU_DEP_3)
	v_add_co_u32 v27, s0, v50, v27
	s_wait_alu 0xf1ff
	v_add_co_ci_u32_e64 v28, s0, v51, v28, s0
	v_add_co_u32 v48, s0, v50, v48
	s_wait_alu 0xf1ff
	v_add_co_ci_u32_e64 v49, s0, v51, v49, s0
	s_clause 0x13
	global_load_b128 v[140:143], v[32:33], off
	global_load_b128 v[152:155], v[34:35], off
	;; [unrolled: 1-line block ×20, first 2 shown]
                                        ; implicit-def: $vgpr24_vgpr25
                                        ; implicit-def: $vgpr28_vgpr29
                                        ; implicit-def: $vgpr32_vgpr33
                                        ; implicit-def: $vgpr36_vgpr37
                                        ; implicit-def: $vgpr80_vgpr81
                                        ; implicit-def: $vgpr84_vgpr85
                                        ; implicit-def: $vgpr56_vgpr57
                                        ; implicit-def: $vgpr64_vgpr65
                                        ; implicit-def: $vgpr48_vgpr49
                                        ; implicit-def: $vgpr52_vgpr53
	v_cmpx_gt_u32_e32 36, v194
	s_cbranch_execz .LBB0_14
; %bb.13:
	v_add_nc_u32_e32 v38, 0x414, v194
	v_add_nc_u32_e32 v34, 0x18c, v194
	;; [unrolled: 1-line block ×4, first 2 shown]
	s_delay_alu instid0(VALU_DEP_4) | instskip(SKIP_3) | instid1(VALU_DEP_3)
	v_mad_co_u64_u32 v[48:49], null, s8, v38, 0
	v_add_nc_u32_e32 v37, 0x33c, v194
	v_mad_co_u64_u32 v[26:27], null, s8, v34, 0
	v_mad_co_u64_u32 v[52:53], null, s8, v39, 0
	;; [unrolled: 1-line block ×3, first 2 shown]
	v_add_nc_u32_e32 v36, 0x264, v194
	v_mad_co_u64_u32 v[64:65], null, s8, v80, 0
	v_add_nc_u32_e32 v59, 0x5c4, v194
	s_delay_alu instid0(VALU_DEP_3) | instskip(SKIP_1) | instid1(VALU_DEP_3)
	v_mad_co_u64_u32 v[28:29], null, s8, v36, 0
	v_add_nc_u32_e32 v30, 0xb4, v194
	v_mad_co_u64_u32 v[54:55], null, s8, v59, 0
	s_delay_alu instid0(VALU_DEP_2) | instskip(NEXT) | instid1(VALU_DEP_4)
	v_mad_co_u64_u32 v[24:25], null, s8, v30, 0
	v_mad_co_u64_u32 v[34:35], null, s9, v34, v[27:28]
	s_delay_alu instid0(VALU_DEP_2) | instskip(SKIP_2) | instid1(VALU_DEP_4)
	v_mad_co_u64_u32 v[30:31], null, s9, v30, v[25:26]
	v_mov_b32_e32 v25, v29
	v_mov_b32_e32 v29, v33
	;; [unrolled: 1-line block ×3, first 2 shown]
	s_delay_alu instid0(VALU_DEP_3) | instskip(SKIP_1) | instid1(VALU_DEP_4)
	v_mad_co_u64_u32 v[35:36], null, s9, v36, v[25:26]
	v_dual_mov_b32 v25, v30 :: v_dual_mov_b32 v36, v49
	v_mad_co_u64_u32 v[33:34], null, s9, v37, v[29:30]
	s_delay_alu instid0(VALU_DEP_4) | instskip(NEXT) | instid1(VALU_DEP_3)
	v_lshlrev_b64_e32 v[26:27], 4, v[26:27]
	v_lshlrev_b64_e32 v[24:25], 4, v[24:25]
	v_mov_b32_e32 v29, v35
	v_mad_co_u64_u32 v[36:37], null, s9, v38, v[36:37]
	v_add_nc_u32_e32 v66, 0x69c, v194
	v_lshlrev_b64_e32 v[32:33], 4, v[32:33]
	v_add_co_u32 v24, s0, v50, v24
	v_lshlrev_b64_e32 v[34:35], 4, v[28:29]
	s_wait_alu 0xf1ff
	v_add_co_ci_u32_e64 v25, s0, v51, v25, s0
	v_mov_b32_e32 v49, v36
	v_add_co_u32 v30, s0, v50, v26
	s_wait_alu 0xf1ff
	v_add_co_ci_u32_e64 v31, s0, v51, v27, s0
	v_add_co_u32 v34, s0, v50, v34
	s_wait_alu 0xf1ff
	v_add_co_ci_u32_e64 v35, s0, v51, v35, s0
	v_add_co_u32 v37, s0, v50, v32
	v_mov_b32_e32 v32, v53
	v_lshlrev_b64_e32 v[48:49], 4, v[48:49]
	s_wait_alu 0xf1ff
	v_add_co_ci_u32_e64 v38, s0, v51, v33, s0
	s_clause 0x1
	global_load_b128 v[24:27], v[24:25], off
	global_load_b128 v[28:31], v[30:31], off
	v_mad_co_u64_u32 v[56:57], null, s9, v39, v[32:33]
	v_mad_co_u64_u32 v[57:58], null, s8, v66, 0
	v_add_co_u32 v48, s0, v50, v48
	s_wait_alu 0xf1ff
	v_add_co_ci_u32_e64 v49, s0, v51, v49, s0
	s_delay_alu instid0(VALU_DEP_4)
	v_mov_b32_e32 v53, v56
	s_clause 0x1
	global_load_b128 v[32:35], v[34:35], off
	global_load_b128 v[36:39], v[37:38], off
	v_mad_co_u64_u32 v[55:56], null, s9, v59, v[55:56]
	v_mov_b32_e32 v56, v58
	v_lshlrev_b64_e32 v[52:53], 4, v[52:53]
	s_delay_alu instid0(VALU_DEP_2) | instskip(SKIP_2) | instid1(VALU_DEP_4)
	v_mad_co_u64_u32 v[58:59], null, s9, v66, v[56:57]
	v_mov_b32_e32 v56, v65
	v_lshlrev_b64_e32 v[54:55], 4, v[54:55]
	v_add_co_u32 v52, s0, v50, v52
	s_wait_alu 0xf1ff
	v_add_co_ci_u32_e64 v53, s0, v51, v53, s0
	v_mad_co_u64_u32 v[80:81], null, s9, v80, v[56:57]
	v_add_nc_u32_e32 v82, 0x84c, v194
	v_add_co_u32 v54, s0, v50, v54
	s_wait_alu 0xf1ff
	v_add_co_ci_u32_e64 v55, s0, v51, v55, s0
	s_delay_alu instid0(VALU_DEP_4) | instskip(SKIP_1) | instid1(VALU_DEP_1)
	v_mov_b32_e32 v65, v80
	v_mad_co_u64_u32 v[66:67], null, s8, v82, 0
	v_mov_b32_e32 v56, v67
	s_delay_alu instid0(VALU_DEP_1) | instskip(SKIP_2) | instid1(VALU_DEP_3)
	v_mad_co_u64_u32 v[81:82], null, s9, v82, v[56:57]
	v_lshlrev_b64_e32 v[56:57], 4, v[57:58]
	v_lshlrev_b64_e32 v[58:59], 4, v[64:65]
	v_mov_b32_e32 v67, v81
	s_delay_alu instid0(VALU_DEP_3) | instskip(SKIP_1) | instid1(VALU_DEP_4)
	v_add_co_u32 v64, s0, v50, v56
	s_wait_alu 0xf1ff
	v_add_co_ci_u32_e64 v65, s0, v51, v57, s0
	s_delay_alu instid0(VALU_DEP_3) | instskip(SKIP_3) | instid1(VALU_DEP_3)
	v_lshlrev_b64_e32 v[56:57], 4, v[66:67]
	v_add_co_u32 v160, s0, v50, v58
	s_wait_alu 0xf1ff
	v_add_co_ci_u32_e64 v161, s0, v51, v59, s0
	v_add_co_u32 v162, s0, v50, v56
	s_wait_alu 0xf1ff
	v_add_co_ci_u32_e64 v163, s0, v51, v57, s0
	s_clause 0x5
	global_load_b128 v[80:83], v[48:49], off
	global_load_b128 v[84:87], v[52:53], off
	;; [unrolled: 1-line block ×6, first 2 shown]
.LBB0_14:
	s_wait_alu 0xfffe
	s_or_b32 exec_lo, exec_lo, s2
	v_dual_mov_b32 v201, v255 :: v_dual_add_nc_u32 v204, 60, v194
.LBB0_15:
	s_or_b32 exec_lo, exec_lo, s1
	s_wait_loadcnt 0x18
	v_add_f64_e64 v[160:161], v[12:13], -v[16:17]
	s_wait_loadcnt 0x14
	v_add_f64_e64 v[162:163], v[40:41], -v[88:89]
	v_add_f64_e64 v[164:165], v[88:89], -v[40:41]
	;; [unrolled: 1-line block ×7, first 2 shown]
	s_mov_b32 s18, 0x134454ff
	s_mov_b32 s19, 0x3fee6f0e
	s_mov_b32 s3, 0xbfee6f0e
	s_mov_b32 s2, s18
	s_mov_b32 s14, 0x4755a5e
	s_mov_b32 s15, 0x3fe2cf23
	s_mov_b32 s7, 0xbfe2cf23
	s_mov_b32 s6, s14
	v_add_f64_e64 v[184:185], v[12:13], -v[40:41]
	v_add_f64_e64 v[188:189], v[16:17], -v[88:89]
	;; [unrolled: 1-line block ×4, first 2 shown]
	s_mov_b32 s12, 0x372fe950
	s_mov_b32 s13, 0x3fd3c6ef
	;; [unrolled: 1-line block ×4, first 2 shown]
	v_cmp_gt_u32_e64 s0, 36, v194
	v_add_f64_e32 v[160:161], v[162:163], v[160:161]
	v_add_f64_e64 v[162:163], v[16:17], -v[12:13]
	s_delay_alu instid0(VALU_DEP_1) | instskip(SKIP_1) | instid1(VALU_DEP_1)
	v_add_f64_e32 v[162:163], v[164:165], v[162:163]
	v_add_f64_e64 v[164:165], v[14:15], -v[18:19]
	v_add_f64_e32 v[164:165], v[166:167], v[164:165]
	v_add_f64_e64 v[166:167], v[18:19], -v[14:15]
	s_delay_alu instid0(VALU_DEP_1) | instskip(SKIP_1) | instid1(VALU_DEP_1)
	v_add_f64_e32 v[166:167], v[168:169], v[166:167]
	v_add_f64_e64 v[168:169], v[0:1], -v[20:21]
	v_add_f64_e32 v[178:179], v[170:171], v[168:169]
	v_add_f64_e64 v[168:169], v[20:21], -v[0:1]
	v_add_f64_e64 v[170:171], v[92:93], -v[44:45]
	s_delay_alu instid0(VALU_DEP_1) | instskip(SKIP_2) | instid1(VALU_DEP_2)
	v_add_f64_e32 v[180:181], v[170:171], v[168:169]
	v_add_f64_e32 v[168:169], v[88:89], v[16:17]
	;; [unrolled: 1-line block ×3, first 2 shown]
	v_fma_f64 v[168:169], v[168:169], -0.5, v[8:9]
	s_delay_alu instid0(VALU_DEP_2) | instskip(SKIP_1) | instid1(VALU_DEP_3)
	v_fma_f64 v[170:171], v[170:171], -0.5, v[8:9]
	v_add_f64_e32 v[8:9], v[12:13], v[8:9]
	v_fma_f64 v[174:175], v[172:173], s[18:19], v[168:169]
	s_wait_alu 0xfffe
	v_fma_f64 v[168:169], v[172:173], s[2:3], v[168:169]
	s_delay_alu instid0(VALU_DEP_4)
	v_fma_f64 v[182:183], v[176:177], s[2:3], v[170:171]
	v_fma_f64 v[170:171], v[176:177], s[18:19], v[170:171]
	v_add_f64_e32 v[8:9], v[16:17], v[8:9]
	v_fma_f64 v[174:175], v[176:177], s[14:15], v[174:175]
	v_fma_f64 v[168:169], v[176:177], s[6:7], v[168:169]
	;; [unrolled: 1-line block ×4, first 2 shown]
	v_add_f64_e32 v[170:171], v[90:91], v[18:19]
	v_add_f64_e32 v[172:173], v[42:43], v[14:15]
	;; [unrolled: 1-line block ×3, first 2 shown]
	s_delay_alu instid0(VALU_DEP_4) | instskip(NEXT) | instid1(VALU_DEP_4)
	v_fma_f64 v[182:183], v[162:163], s[12:13], v[182:183]
	v_fma_f64 v[170:171], v[170:171], -0.5, v[10:11]
	s_delay_alu instid0(VALU_DEP_4) | instskip(NEXT) | instid1(VALU_DEP_4)
	v_fma_f64 v[172:173], v[172:173], -0.5, v[10:11]
	v_add_f64_e32 v[8:9], v[40:41], v[8:9]
	s_delay_alu instid0(VALU_DEP_4) | instskip(NEXT) | instid1(VALU_DEP_4)
	v_mul_f64_e32 v[40:41], s[12:13], v[182:183]
	v_fma_f64 v[186:187], v[184:185], s[2:3], v[170:171]
	v_fma_f64 v[170:171], v[184:185], s[18:19], v[170:171]
	;; [unrolled: 1-line block ×4, first 2 shown]
	s_delay_alu instid0(VALU_DEP_4) | instskip(NEXT) | instid1(VALU_DEP_4)
	v_fma_f64 v[186:187], v[188:189], s[6:7], v[186:187]
	v_fma_f64 v[188:189], v[188:189], s[14:15], v[170:171]
	s_delay_alu instid0(VALU_DEP_4) | instskip(NEXT) | instid1(VALU_DEP_4)
	v_fma_f64 v[190:191], v[184:185], s[6:7], v[190:191]
	v_fma_f64 v[184:185], v[184:185], s[14:15], v[172:173]
	v_add_f64_e32 v[170:171], v[92:93], v[20:21]
	v_add_f64_e32 v[172:173], v[44:45], v[0:1]
	v_fma_f64 v[186:187], v[164:165], s[12:13], v[186:187]
	s_delay_alu instid0(VALU_DEP_3) | instskip(NEXT) | instid1(VALU_DEP_3)
	v_fma_f64 v[170:171], v[170:171], -0.5, v[4:5]
	v_fma_f64 v[172:173], v[172:173], -0.5, v[4:5]
	v_add_f64_e32 v[4:5], v[0:1], v[4:5]
	s_delay_alu instid0(VALU_DEP_3) | instskip(SKIP_1) | instid1(VALU_DEP_3)
	v_fma_f64 v[195:196], v[192:193], s[18:19], v[170:171]
	v_fma_f64 v[170:171], v[192:193], s[2:3], v[170:171]
	v_add_f64_e32 v[4:5], v[20:21], v[4:5]
	v_fma_f64 v[199:200], v[197:198], s[2:3], v[172:173]
	v_fma_f64 v[172:173], v[197:198], s[18:19], v[172:173]
	;; [unrolled: 1-line block ×5, first 2 shown]
	v_add_f64_e32 v[4:5], v[92:93], v[4:5]
	v_fma_f64 v[202:203], v[192:193], s[14:15], v[199:200]
	v_fma_f64 v[192:193], v[192:193], s[6:7], v[172:173]
	;; [unrolled: 1-line block ×7, first 2 shown]
	s_clause 0x1
	scratch_store_b64 off, v[186:187], off offset:24
	scratch_store_b64 off, v[182:183], off offset:16
	s_wait_loadcnt 0xa
	v_add_f64_e64 v[182:183], v[158:159], -v[74:75]
	v_add_f64_e64 v[190:191], v[156:157], -v[72:73]
	v_fma_f64 v[160:161], v[178:179], s[12:13], v[195:196]
	v_fma_f64 v[162:163], v[178:179], s[12:13], v[197:198]
	v_mul_f64_e32 v[12:13], s[16:17], v[170:171]
	v_add_f64_e32 v[4:5], v[44:45], v[4:5]
	v_fma_f64 v[164:165], v[180:181], s[12:13], v[202:203]
	v_fma_f64 v[166:167], v[180:181], s[12:13], v[192:193]
	v_mul_f64_e32 v[16:17], s[12:13], v[172:173]
	scratch_store_b64 off, v[199:200], off offset:8 ; 8-byte Folded Spill
	v_mul_f64_e32 v[88:89], s[16:17], v[199:200]
	v_add_f64_e64 v[178:179], v[126:127], -v[110:111]
	v_fma_f64 v[40:41], v[176:177], s[18:19], -v[40:41]
	v_add_f64_e64 v[195:196], v[132:133], -v[104:105]
	v_fma_f64 v[12:13], v[186:187], s[14:15], v[12:13]
	v_add_f64_e32 v[205:206], v[8:9], v[4:5]
	v_add_f64_e64 v[211:212], v[4:5], -v[8:9]
	v_add_f64_e64 v[4:5], v[120:121], -v[124:125]
	;; [unrolled: 1-line block ×3, first 2 shown]
	v_fma_f64 v[16:17], v[168:169], s[18:19], v[16:17]
	v_fma_f64 v[88:89], v[174:175], s[14:15], -v[88:89]
	v_add_f64_e64 v[186:187], v[134:135], -v[106:107]
	v_add_f64_e32 v[219:220], v[166:167], v[40:41]
	v_add_f64_e64 v[221:222], v[166:167], -v[40:41]
	v_add_f64_e64 v[40:41], v[104:105], -v[72:73]
	v_add_f64_e32 v[207:208], v[160:161], v[12:13]
	v_add_f64_e64 v[213:214], v[160:161], -v[12:13]
	;; [unrolled: 3-line block ×4, first 2 shown]
	v_add_f64_e32 v[209:210], v[162:163], v[88:89]
	v_add_f64_e64 v[223:224], v[162:163], -v[88:89]
	v_add_f64_e64 v[88:89], v[74:75], -v[106:107]
	;; [unrolled: 1-line block ×3, first 2 shown]
	v_add_f64_e32 v[8:9], v[12:13], v[8:9]
	v_add_f64_e64 v[12:13], v[156:157], -v[132:133]
	s_delay_alu instid0(VALU_DEP_1) | instskip(SKIP_1) | instid1(VALU_DEP_1)
	v_add_f64_e32 v[12:13], v[16:17], v[12:13]
	v_add_f64_e64 v[16:17], v[132:133], -v[156:157]
	v_add_f64_e32 v[16:17], v[40:41], v[16:17]
	v_add_f64_e64 v[40:41], v[158:159], -v[134:135]
	s_delay_alu instid0(VALU_DEP_1) | instskip(SKIP_2) | instid1(VALU_DEP_1)
	v_add_f64_e32 v[160:161], v[88:89], v[40:41]
	v_add_f64_e64 v[40:41], v[134:135], -v[158:159]
	v_add_f64_e64 v[88:89], v[106:107], -v[74:75]
	v_add_f64_e32 v[162:163], v[88:89], v[40:41]
	v_add_f64_e32 v[40:41], v[108:109], v[124:125]
	;; [unrolled: 1-line block ×3, first 2 shown]
	s_delay_alu instid0(VALU_DEP_2) | instskip(NEXT) | instid1(VALU_DEP_2)
	v_fma_f64 v[40:41], v[40:41], -0.5, v[140:141]
	v_fma_f64 v[88:89], v[88:89], -0.5, v[140:141]
	v_add_f64_e32 v[140:141], v[120:121], v[140:141]
	s_delay_alu instid0(VALU_DEP_3) | instskip(SKIP_1) | instid1(VALU_DEP_4)
	v_fma_f64 v[166:167], v[164:165], s[18:19], v[40:41]
	v_fma_f64 v[40:41], v[164:165], s[2:3], v[40:41]
	;; [unrolled: 1-line block ×4, first 2 shown]
	v_add_f64_e32 v[140:141], v[124:125], v[140:141]
	v_fma_f64 v[166:167], v[178:179], s[14:15], v[166:167]
	v_fma_f64 v[40:41], v[178:179], s[6:7], v[40:41]
	;; [unrolled: 1-line block ×4, first 2 shown]
	v_add_f64_e32 v[164:165], v[104:105], v[132:133]
	v_add_f64_e32 v[180:181], v[72:73], v[156:157]
	;; [unrolled: 1-line block ×3, first 2 shown]
	v_fma_f64 v[166:167], v[4:5], s[12:13], v[166:167]
	v_fma_f64 v[202:203], v[8:9], s[12:13], v[88:89]
	v_fma_f64 v[164:165], v[164:165], -0.5, v[152:153]
	v_fma_f64 v[180:181], v[180:181], -0.5, v[152:153]
	v_add_f64_e32 v[152:153], v[156:157], v[152:153]
	s_delay_alu instid0(VALU_DEP_3) | instskip(SKIP_1) | instid1(VALU_DEP_4)
	v_fma_f64 v[184:185], v[182:183], s[18:19], v[164:165]
	v_fma_f64 v[164:165], v[182:183], s[2:3], v[164:165]
	;; [unrolled: 1-line block ×4, first 2 shown]
	v_add_f64_e32 v[132:133], v[132:133], v[152:153]
	v_fma_f64 v[184:185], v[186:187], s[14:15], v[184:185]
	v_fma_f64 v[164:165], v[186:187], s[6:7], v[164:165]
	;; [unrolled: 1-line block ×4, first 2 shown]
	v_add_f64_e32 v[182:183], v[106:107], v[134:135]
	v_add_f64_e32 v[188:189], v[74:75], v[158:159]
	;; [unrolled: 1-line block ×4, first 2 shown]
	v_fma_f64 v[88:89], v[16:17], s[12:13], v[186:187]
	s_wait_loadcnt 0x0
	v_add_f64_e64 v[186:187], v[150:151], -v[62:63]
	v_fma_f64 v[182:183], v[182:183], -0.5, v[154:155]
	v_fma_f64 v[188:189], v[188:189], -0.5, v[154:155]
	v_add_f64_e32 v[72:73], v[72:73], v[104:105]
	v_mul_f64_e32 v[140:141], s[12:13], v[88:89]
	s_delay_alu instid0(VALU_DEP_4)
	v_fma_f64 v[192:193], v[190:191], s[2:3], v[182:183]
	v_fma_f64 v[182:183], v[190:191], s[18:19], v[182:183]
	;; [unrolled: 1-line block ×4, first 2 shown]
	v_add_f64_e32 v[225:226], v[72:73], v[132:133]
	v_add_f64_e64 v[231:232], v[132:133], -v[72:73]
	v_add_f64_e64 v[72:73], v[112:113], -v[116:117]
	;; [unrolled: 1-line block ×3, first 2 shown]
	v_fma_f64 v[192:193], v[195:196], s[6:7], v[192:193]
	v_fma_f64 v[182:183], v[195:196], s[14:15], v[182:183]
	;; [unrolled: 1-line block ×9, first 2 shown]
	v_add_f64_e64 v[164:165], v[114:115], -v[70:71]
	v_fma_f64 v[12:13], v[160:161], s[12:13], v[192:193]
	v_fma_f64 v[178:179], v[160:161], s[12:13], v[182:183]
	;; [unrolled: 1-line block ×4, first 2 shown]
	v_add_f64_e64 v[160:161], v[98:99], -v[62:63]
	v_mul_f64_e32 v[104:105], s[16:17], v[40:41]
	v_mul_f64_e32 v[156:157], s[16:17], v[4:5]
	v_add_f64_e32 v[162:163], v[68:69], v[112:113]
	v_mul_f64_e32 v[152:153], s[12:13], v[8:9]
	v_add_f64_e64 v[182:183], v[118:119], -v[102:103]
	v_add_f64_e64 v[195:196], v[148:149], -v[60:61]
	v_fma_f64 v[140:141], v[16:17], s[18:19], v[140:141]
	v_fma_f64 v[104:105], v[12:13], s[14:15], v[104:105]
	v_fma_f64 v[156:157], v[178:179], s[14:15], -v[156:157]
	v_fma_f64 v[162:163], v[162:163], -0.5, v[136:137]
	v_fma_f64 v[152:153], v[180:181], s[18:19], -v[152:153]
	v_add_f64_e64 v[235:236], v[197:198], -v[140:141]
	v_add_f64_e32 v[237:238], v[197:198], v[140:141]
	v_add_f64_e64 v[140:141], v[60:61], -v[96:97]
	v_add_f64_e32 v[227:228], v[166:167], v[104:105]
	v_add_f64_e64 v[233:234], v[166:167], -v[104:105]
	v_add_f64_e64 v[104:105], v[68:69], -v[100:101]
	v_add_f64_e32 v[239:240], v[202:203], v[152:153]
	v_add_f64_e64 v[241:242], v[202:203], -v[152:153]
	;; [unrolled: 3-line block ×3, first 2 shown]
	v_add_f64_e64 v[156:157], v[62:63], -v[98:99]
	v_fma_f64 v[184:185], v[182:183], s[2:3], v[162:163]
	v_fma_f64 v[162:163], v[182:183], s[18:19], v[162:163]
	v_add_f64_e64 v[190:191], v[130:131], -v[98:99]
	v_add_f64_e64 v[202:203], v[128:129], -v[96:97]
	v_add_f64_e32 v[72:73], v[104:105], v[72:73]
	v_add_f64_e64 v[104:105], v[116:117], -v[112:113]
	v_fma_f64 v[162:163], v[164:165], s[6:7], v[162:163]
	s_delay_alu instid0(VALU_DEP_2) | instskip(SKIP_1) | instid1(VALU_DEP_2)
	v_add_f64_e32 v[104:105], v[132:133], v[104:105]
	v_add_f64_e64 v[132:133], v[148:149], -v[128:129]
	v_fma_f64 v[253:254], v[104:105], s[12:13], v[162:163]
	s_delay_alu instid0(VALU_DEP_2) | instskip(SKIP_1) | instid1(VALU_DEP_1)
	v_add_f64_e32 v[132:133], v[140:141], v[132:133]
	v_add_f64_e64 v[140:141], v[128:129], -v[148:149]
	v_add_f64_e32 v[140:141], v[152:153], v[140:141]
	v_add_f64_e64 v[152:153], v[150:151], -v[130:131]
	s_delay_alu instid0(VALU_DEP_1) | instskip(SKIP_1) | instid1(VALU_DEP_1)
	v_add_f64_e32 v[152:153], v[156:157], v[152:153]
	v_add_f64_e64 v[156:157], v[130:131], -v[150:151]
	v_add_f64_e32 v[156:157], v[160:161], v[156:157]
	v_add_f64_e32 v[160:161], v[100:101], v[116:117]
	s_delay_alu instid0(VALU_DEP_1) | instskip(NEXT) | instid1(VALU_DEP_1)
	v_fma_f64 v[160:161], v[160:161], -0.5, v[136:137]
	v_fma_f64 v[166:167], v[164:165], s[18:19], v[160:161]
	v_fma_f64 v[160:161], v[164:165], s[2:3], v[160:161]
	s_delay_alu instid0(VALU_DEP_2) | instskip(NEXT) | instid1(VALU_DEP_2)
	v_fma_f64 v[166:167], v[182:183], s[14:15], v[166:167]
	v_fma_f64 v[160:161], v[182:183], s[6:7], v[160:161]
	;; [unrolled: 1-line block ×3, first 2 shown]
	v_add_f64_e32 v[164:165], v[96:97], v[128:129]
	v_add_f64_e32 v[184:185], v[60:61], v[148:149]
	v_fma_f64 v[166:167], v[72:73], s[12:13], v[166:167]
	v_fma_f64 v[199:200], v[72:73], s[12:13], v[160:161]
	;; [unrolled: 1-line block ×3, first 2 shown]
	v_fma_f64 v[164:165], v[164:165], -0.5, v[144:145]
	v_fma_f64 v[184:185], v[184:185], -0.5, v[144:145]
	s_delay_alu instid0(VALU_DEP_2) | instskip(SKIP_1) | instid1(VALU_DEP_3)
	v_fma_f64 v[188:189], v[186:187], s[18:19], v[164:165]
	v_fma_f64 v[164:165], v[186:187], s[2:3], v[164:165]
	;; [unrolled: 1-line block ×4, first 2 shown]
	s_delay_alu instid0(VALU_DEP_4) | instskip(NEXT) | instid1(VALU_DEP_4)
	v_fma_f64 v[188:189], v[190:191], s[14:15], v[188:189]
	v_fma_f64 v[164:165], v[190:191], s[6:7], v[164:165]
	s_delay_alu instid0(VALU_DEP_4) | instskip(NEXT) | instid1(VALU_DEP_4)
	v_fma_f64 v[190:191], v[186:187], s[14:15], v[192:193]
	v_fma_f64 v[184:185], v[186:187], s[6:7], v[184:185]
	v_add_f64_e32 v[186:187], v[98:99], v[130:131]
	v_add_f64_e32 v[192:193], v[62:63], v[150:151]
	v_fma_f64 v[72:73], v[132:133], s[12:13], v[164:165]
	s_delay_alu instid0(VALU_DEP_4) | instskip(NEXT) | instid1(VALU_DEP_4)
	v_fma_f64 v[104:105], v[140:141], s[12:13], v[184:185]
	v_fma_f64 v[186:187], v[186:187], -0.5, v[146:147]
	s_delay_alu instid0(VALU_DEP_4) | instskip(NEXT) | instid1(VALU_DEP_2)
	v_fma_f64 v[192:193], v[192:193], -0.5, v[146:147]
	v_fma_f64 v[197:198], v[195:196], s[2:3], v[186:187]
	v_fma_f64 v[186:187], v[195:196], s[18:19], v[186:187]
	s_delay_alu instid0(VALU_DEP_3) | instskip(SKIP_1) | instid1(VALU_DEP_4)
	v_fma_f64 v[245:246], v[202:203], s[18:19], v[192:193]
	v_fma_f64 v[192:193], v[202:203], s[2:3], v[192:193]
	;; [unrolled: 1-line block ×3, first 2 shown]
	s_delay_alu instid0(VALU_DEP_4) | instskip(NEXT) | instid1(VALU_DEP_4)
	v_fma_f64 v[186:187], v[202:203], s[14:15], v[186:187]
	v_fma_f64 v[202:203], v[195:196], s[6:7], v[245:246]
	s_delay_alu instid0(VALU_DEP_4)
	v_fma_f64 v[195:196], v[195:196], s[14:15], v[192:193]
	v_fma_f64 v[192:193], v[132:133], s[12:13], v[188:189]
	v_add_f64_e32 v[132:133], v[112:113], v[136:137]
	v_add_f64_e32 v[136:137], v[148:149], v[144:145]
	v_fma_f64 v[188:189], v[140:141], s[12:13], v[190:191]
	v_mul_f64_e32 v[140:141], s[16:17], v[72:73]
	v_add_f64_e64 v[148:149], v[64:65], -v[52:53]
	v_fma_f64 v[182:183], v[152:153], s[12:13], v[197:198]
	v_fma_f64 v[186:187], v[152:153], s[12:13], v[186:187]
	;; [unrolled: 1-line block ×4, first 2 shown]
	v_add_f64_e32 v[132:133], v[116:117], v[132:133]
	v_add_f64_e32 v[128:129], v[128:129], v[136:137]
	v_mul_f64_e32 v[136:137], s[12:13], v[104:105]
	v_fma_f64 v[140:141], v[186:187], s[14:15], -v[140:141]
	s_delay_alu instid0(VALU_DEP_4) | instskip(NEXT) | instid1(VALU_DEP_4)
	v_add_f64_e32 v[132:133], v[100:101], v[132:133]
	v_add_f64_e32 v[96:97], v[96:97], v[128:129]
	s_delay_alu instid0(VALU_DEP_4) | instskip(NEXT) | instid1(VALU_DEP_3)
	v_fma_f64 v[136:137], v[190:191], s[18:19], -v[136:137]
	v_add_f64_e32 v[128:129], v[68:69], v[132:133]
	s_delay_alu instid0(VALU_DEP_3) | instskip(SKIP_1) | instid1(VALU_DEP_4)
	v_add_f64_e32 v[60:61], v[60:61], v[96:97]
	v_mul_f64_e32 v[96:97], s[16:17], v[192:193]
	v_add_f64_e32 v[197:198], v[253:254], v[136:137]
	v_add_f64_e64 v[164:165], v[253:254], -v[136:137]
	v_mov_b32_e32 v253, v204
	v_mul_f64_e32 v[132:133], s[12:13], v[188:189]
	v_add_f64_e32 v[136:137], v[52:53], v[36:37]
	v_add_f64_e32 v[245:246], v[60:61], v[128:129]
	v_fma_f64 v[96:97], v[182:183], s[14:15], v[96:97]
	v_add_f64_e64 v[162:163], v[128:129], -v[60:61]
	v_mul_u32_u24_e32 v60, 10, v194
	v_add_f64_e64 v[128:129], v[38:39], -v[54:55]
	v_fma_f64 v[132:133], v[184:185], s[18:19], v[132:133]
	v_fma_f64 v[136:137], v[136:137], -0.5, v[28:29]
	s_delay_alu instid0(VALU_DEP_4)
	v_lshl_add_u32 v204, v60, 3, 0
	v_mul_i32_i24_e32 v60, 10, v253
	ds_store_b128 v204, v[205:208]
	ds_store_b128 v204, v[217:220] offset:16
	ds_store_b128 v204, v[209:212] offset:32
	;; [unrolled: 1-line block ×4, first 2 shown]
	v_lshl_add_u32 v202, v60, 3, 0
	v_mul_i32_i24_e32 v60, 10, v201
	ds_store_b128 v202, v[225:228]
	ds_store_b128 v202, v[237:240] offset:16
	ds_store_b128 v202, v[229:232] offset:32
	;; [unrolled: 1-line block ×4, first 2 shown]
	v_lshl_add_u32 v203, v60, 3, 0
	v_add_f64_e64 v[60:61], v[36:37], -v[84:85]
	v_add_f64_e32 v[247:248], v[166:167], v[96:97]
	v_add_f64_e64 v[249:250], v[166:167], -v[96:97]
	v_add_f64_e64 v[96:97], v[52:53], -v[64:65]
	;; [unrolled: 1-line block ×4, first 2 shown]
	v_add_f64_e32 v[195:196], v[160:161], v[132:133]
	v_add_f64_e32 v[160:161], v[199:200], v[140:141]
	v_add_f64_e64 v[140:141], v[86:87], -v[66:67]
	ds_store_b128 v203, v[245:248]
	ds_store_b128 v203, v[195:198] offset:16
	ds_store_b128 v203, v[160:163] offset:32
	;; [unrolled: 1-line block ×4, first 2 shown]
	v_add_f64_e32 v[60:61], v[96:97], v[60:61]
	v_add_f64_e32 v[96:97], v[64:65], v[84:85]
	v_fma_f64 v[144:145], v[140:141], s[2:3], v[136:137]
	v_fma_f64 v[136:137], v[140:141], s[18:19], v[136:137]
	v_add_f64_e32 v[160:161], v[54:55], v[38:39]
	v_add_f64_e64 v[162:163], v[84:85], -v[64:65]
	v_fma_f64 v[96:97], v[96:97], -0.5, v[28:29]
	v_fma_f64 v[144:145], v[128:129], s[14:15], v[144:145]
	v_fma_f64 v[136:137], v[128:129], s[6:7], v[136:137]
	v_fma_f64 v[160:161], v[160:161], -0.5, v[30:31]
	s_delay_alu instid0(VALU_DEP_4) | instskip(SKIP_2) | instid1(VALU_DEP_3)
	v_fma_f64 v[132:133], v[128:129], s[18:19], v[96:97]
	v_fma_f64 v[96:97], v[128:129], s[2:3], v[96:97]
	v_add_f64_e64 v[128:129], v[38:39], -v[86:87]
	v_fma_f64 v[132:133], v[140:141], s[14:15], v[132:133]
	s_delay_alu instid0(VALU_DEP_3) | instskip(SKIP_1) | instid1(VALU_DEP_1)
	v_fma_f64 v[96:97], v[140:141], s[6:7], v[96:97]
	v_add_f64_e64 v[140:141], v[84:85], -v[36:37]
	v_add_f64_e32 v[140:141], v[148:149], v[140:141]
	v_add_f64_e64 v[148:149], v[54:55], -v[66:67]
	s_delay_alu instid0(VALU_DEP_1) | instskip(SKIP_2) | instid1(VALU_DEP_2)
	v_add_f64_e32 v[152:153], v[148:149], v[128:129]
	v_add_f64_e32 v[128:129], v[66:67], v[86:87]
	v_add_f64_e64 v[148:149], v[36:37], -v[52:53]
	v_fma_f64 v[128:129], v[128:129], -0.5, v[30:31]
	s_delay_alu instid0(VALU_DEP_1) | instskip(SKIP_1) | instid1(VALU_DEP_2)
	v_fma_f64 v[156:157], v[148:149], s[2:3], v[128:129]
	v_fma_f64 v[128:129], v[148:149], s[18:19], v[128:129]
	;; [unrolled: 1-line block ×3, first 2 shown]
	s_delay_alu instid0(VALU_DEP_2) | instskip(SKIP_4) | instid1(VALU_DEP_3)
	v_fma_f64 v[166:167], v[162:163], s[14:15], v[128:129]
	v_fma_f64 v[128:129], v[162:163], s[18:19], v[160:161]
	;; [unrolled: 1-line block ×3, first 2 shown]
	v_add_f64_e64 v[160:161], v[86:87], -v[38:39]
	v_add_f64_e64 v[162:163], v[66:67], -v[54:55]
	v_fma_f64 v[195:196], v[148:149], s[14:15], v[156:157]
	v_fma_f64 v[156:157], v[60:61], s[12:13], v[132:133]
	s_delay_alu instid0(VALU_DEP_3)
	v_add_f64_e32 v[160:161], v[162:163], v[160:161]
	v_fma_f64 v[162:163], v[148:149], s[6:7], v[128:129]
	v_fma_f64 v[128:129], v[60:61], s[12:13], v[96:97]
	;; [unrolled: 1-line block ×8, first 2 shown]
	s_and_saveexec_b32 s1, s0
	s_cbranch_execz .LBB0_17
; %bb.16:
	v_add_f64_e32 v[60:61], v[56:57], v[80:81]
	v_add_f64_e32 v[96:97], v[48:49], v[32:33]
	v_add_f64_e64 v[160:161], v[34:35], -v[50:51]
	v_add_f64_e32 v[162:163], v[32:33], v[24:25]
	v_add_f64_e32 v[28:29], v[36:37], v[28:29]
	v_add_f64_e64 v[36:37], v[82:83], -v[58:59]
	v_add_f64_e64 v[164:165], v[48:49], -v[56:57]
	;; [unrolled: 1-line block ×3, first 2 shown]
	v_mul_f64_e32 v[209:210], s[16:17], v[156:157]
	v_mul_f64_e32 v[199:200], s[16:17], v[128:129]
	;; [unrolled: 1-line block ×4, first 2 shown]
	v_fma_f64 v[60:61], v[60:61], -0.5, v[24:25]
	v_fma_f64 v[24:25], v[96:97], -0.5, v[24:25]
	v_add_f64_e64 v[96:97], v[32:33], -v[80:81]
	v_add_f64_e32 v[162:163], v[80:81], v[162:163]
	v_add_f64_e32 v[28:29], v[84:85], v[28:29]
	v_add_f64_e64 v[84:85], v[56:57], -v[48:49]
	v_fma_f64 v[195:196], v[160:161], s[2:3], v[60:61]
	v_fma_f64 v[60:61], v[160:161], s[18:19], v[60:61]
	;; [unrolled: 1-line block ×4, first 2 shown]
	v_add_f64_e32 v[96:97], v[164:165], v[96:97]
	v_add_f64_e32 v[162:163], v[56:57], v[162:163]
	;; [unrolled: 1-line block ×4, first 2 shown]
	v_fma_f64 v[84:85], v[36:37], s[6:7], v[195:196]
	v_fma_f64 v[36:37], v[36:37], s[14:15], v[60:61]
	;; [unrolled: 1-line block ×4, first 2 shown]
	v_fma_f64 v[60:61], v[144:145], s[14:15], -v[199:200]
	v_add_f64_e32 v[166:167], v[48:49], v[162:163]
	v_add_f64_e32 v[28:29], v[52:53], v[28:29]
	v_fma_f64 v[52:53], v[136:137], s[14:15], v[209:210]
	v_fma_f64 v[195:196], v[152:153], s[18:19], -v[205:206]
	v_fma_f64 v[160:161], v[140:141], s[18:19], v[207:208]
	v_fma_f64 v[84:85], v[96:97], s[12:13], v[84:85]
	v_fma_f64 v[36:37], v[96:97], s[12:13], v[36:37]
	v_fma_f64 v[199:200], v[64:65], s[12:13], v[164:165]
	v_fma_f64 v[24:25], v[64:65], s[12:13], v[24:25]
	v_add_f64_e64 v[162:163], v[166:167], -v[28:29]
	v_add_f64_e32 v[164:165], v[28:29], v[166:167]
	v_add_f64_e64 v[197:198], v[84:85], -v[60:61]
	v_add_f64_e32 v[166:167], v[36:37], v[52:53]
	v_add_f64_e32 v[209:210], v[199:200], v[160:161]
	;; [unrolled: 1-line block ×3, first 2 shown]
	v_add_f64_e64 v[207:208], v[199:200], -v[160:161]
	v_add_f64_e32 v[160:161], v[84:85], v[60:61]
	v_add_f64_e64 v[205:206], v[36:37], -v[52:53]
	v_add_f64_e64 v[195:196], v[24:25], -v[195:196]
	ds_store_b128 v204, v[164:167] offset:14400
	ds_store_b128 v204, v[209:212] offset:14416
	;; [unrolled: 1-line block ×5, first 2 shown]
.LBB0_17:
	s_wait_alu 0xfffe
	s_or_b32 exec_lo, exec_lo, s1
	v_add_f64_e32 v[24:25], v[94:95], v[22:23]
	v_add_f64_e32 v[64:65], v[70:71], v[114:115]
	v_add_f64_e32 v[28:29], v[46:47], v[2:3]
	v_add_f64_e32 v[84:85], v[2:3], v[6:7]
	v_add_f64_e32 v[60:61], v[102:103], v[118:119]
	v_add_f64_e64 v[0:1], v[0:1], -v[44:45]
	v_add_f64_e32 v[10:11], v[14:15], v[10:11]
	v_add_f64_e64 v[20:21], v[20:21], -v[92:93]
	v_add_f64_e64 v[92:93], v[116:117], -v[100:101]
	v_add_f64_e32 v[44:45], v[158:159], v[154:155]
	v_add_f64_e32 v[96:97], v[114:115], v[138:139]
	v_add_f64_e64 v[100:101], v[2:3], -v[22:23]
	v_add_f64_e64 v[2:3], v[22:23], -v[2:3]
	v_add_f64_e32 v[146:147], v[150:151], v[146:147]
	v_add_f64_e64 v[68:69], v[112:113], -v[68:69]
	global_wb scope:SCOPE_SE
	s_wait_storecnt_dscnt 0x0
	s_barrier_signal -1
	s_barrier_wait -1
	global_inv scope:SCOPE_SE
	v_add_f64_e32 v[36:37], v[110:111], v[126:127]
	v_add_f64_e32 v[52:53], v[78:79], v[122:123]
	;; [unrolled: 1-line block ×3, first 2 shown]
	v_mul_f64_e32 v[154:155], s[6:7], v[170:171]
	v_mul_f64_e32 v[160:161], s[2:3], v[172:173]
	;; [unrolled: 1-line block ×9, first 2 shown]
	v_lshl_add_u32 v171, v194, 3, 0
	v_add_nc_u32_e32 v170, 0xb4, v194
	v_mul_i32_i24_e32 v158, 0xffffffb8, v253
	v_mul_i32_i24_e32 v159, 0xffffffb8, v201
	s_delay_alu instid0(VALU_DEP_4)
	v_add_nc_u32_e32 v180, 0x1400, v171
	v_add_nc_u32_e32 v179, 0x2000, v171
	v_fma_f64 v[24:25], v[24:25], -0.5, v[6:7]
	v_fma_f64 v[64:65], v[64:65], -0.5, v[138:139]
	;; [unrolled: 1-line block ×3, first 2 shown]
	v_add_f64_e32 v[22:23], v[22:23], v[84:85]
	v_fma_f64 v[60:61], v[60:61], -0.5, v[138:139]
	v_add_f64_e64 v[28:29], v[120:121], -v[76:77]
	v_add_f64_e32 v[10:11], v[18:19], v[10:11]
	v_add_f64_e64 v[76:77], v[124:125], -v[108:109]
	v_add_f64_e64 v[108:109], v[46:47], -v[94:95]
	v_add_f64_e32 v[18:19], v[134:135], v[44:45]
	v_add_f64_e32 v[44:45], v[118:119], v[96:97]
	v_add_f64_e64 v[138:139], v[114:115], -v[118:119]
	v_add_f64_e64 v[114:115], v[118:119], -v[114:115]
	v_add_f64_e64 v[118:119], v[102:103], -v[70:71]
	v_add_f64_e32 v[84:85], v[130:131], v[146:147]
	v_add_f64_e64 v[96:97], v[94:95], -v[46:47]
	v_add_f64_e64 v[120:121], v[122:123], -v[126:127]
	;; [unrolled: 1-line block ×4, first 2 shown]
	v_fma_f64 v[36:37], v[36:37], -0.5, v[142:143]
	v_fma_f64 v[52:53], v[52:53], -0.5, v[142:143]
	v_add_f64_e32 v[14:15], v[126:127], v[14:15]
	v_add_f64_e64 v[126:127], v[110:111], -v[78:79]
	v_add_f64_e64 v[142:143], v[70:71], -v[102:103]
	v_add_nc_u32_e32 v177, 0x3800, v171
	v_add_nc_u32_e32 v178, 0x1800, v171
	v_fma_f64 v[12:13], v[12:13], s[16:17], v[40:41]
	v_fma_f64 v[16:17], v[16:17], s[12:13], v[88:89]
	v_fma_f64 v[8:9], v[8:9], s[2:3], -v[166:167]
	v_fma_f64 v[40:41], v[4:5], s[6:7], -v[172:173]
	v_fma_f64 v[88:89], v[182:183], s[16:17], v[174:175]
	v_add_nc_u32_e32 v172, 0x800, v171
	v_add_nc_u32_e32 v174, 0x2800, v171
	;; [unrolled: 1-line block ×7, first 2 shown]
	v_fma_f64 v[112:113], v[0:1], s[2:3], v[24:25]
	v_fma_f64 v[150:151], v[92:93], s[18:19], v[64:65]
	;; [unrolled: 1-line block ×4, first 2 shown]
	v_add_f64_e32 v[22:23], v[94:95], v[22:23]
	v_fma_f64 v[146:147], v[68:69], s[2:3], v[60:61]
	v_fma_f64 v[60:61], v[68:69], s[18:19], v[60:61]
	v_add_f64_e32 v[10:11], v[90:91], v[10:11]
	v_add_f64_e32 v[100:101], v[108:109], v[100:101]
	v_fma_f64 v[6:7], v[20:21], s[2:3], v[6:7]
	v_fma_f64 v[24:25], v[0:1], s[18:19], v[24:25]
	v_add_f64_e32 v[44:45], v[102:103], v[44:45]
	v_add_f64_e32 v[18:19], v[106:107], v[18:19]
	;; [unrolled: 1-line block ×5, first 2 shown]
	v_mad_i32_i24 v114, 0xffffffb8, v253, v202
	v_add_f64_e32 v[96:97], v[124:125], v[120:121]
	v_fma_f64 v[130:131], v[28:29], s[2:3], v[36:37]
	v_fma_f64 v[134:135], v[76:77], s[18:19], v[52:53]
	;; [unrolled: 1-line block ×4, first 2 shown]
	v_add_f64_e32 v[14:15], v[110:111], v[14:15]
	v_add_f64_e32 v[98:99], v[126:127], v[122:123]
	v_fma_f64 v[90:91], v[20:21], s[6:7], v[112:113]
	v_fma_f64 v[112:113], v[68:69], s[6:7], v[150:151]
	v_fma_f64 v[64:65], v[68:69], s[14:15], v[64:65]
	scratch_load_b64 v[68:69], off, off offset:24 th:TH_LOAD_LU ; 8-byte Folded Reload
	v_fma_f64 v[94:95], v[0:1], s[6:7], v[116:117]
	scratch_load_b64 v[115:116], off, off offset:16 th:TH_LOAD_LU ; 8-byte Folded Reload
	v_add_f64_e32 v[22:23], v[46:47], v[22:23]
	scratch_load_b64 v[46:47], off, off offset:8 th:TH_LOAD_LU ; 8-byte Folded Reload
	v_fma_f64 v[110:111], v[92:93], s[6:7], v[146:147]
	v_fma_f64 v[0:1], v[0:1], s[14:15], v[6:7]
	;; [unrolled: 1-line block ×3, first 2 shown]
	v_mul_f64_e32 v[20:21], s[2:3], v[188:189]
	v_mul_f64_e32 v[24:25], s[12:13], v[190:191]
	v_fma_f64 v[60:61], v[92:93], s[14:15], v[60:61]
	v_add_f64_e32 v[10:11], v[42:43], v[10:11]
	v_add_f64_e32 v[42:43], v[70:71], v[44:45]
	;; [unrolled: 1-line block ×3, first 2 shown]
	v_fma_f64 v[92:93], v[168:169], s[12:13], v[160:161]
	v_add_f64_e32 v[18:19], v[74:75], v[18:19]
	v_fma_f64 v[102:103], v[76:77], s[6:7], v[130:131]
	v_fma_f64 v[106:107], v[28:29], s[6:7], v[134:135]
	;; [unrolled: 1-line block ×4, first 2 shown]
	v_mul_f64_e32 v[52:53], s[16:17], v[186:187]
	v_add_f64_e32 v[76:77], v[142:143], v[138:139]
	v_add_f64_e32 v[14:15], v[78:79], v[14:15]
	v_fma_f64 v[62:63], v[100:101], s[12:13], v[90:91]
	v_fma_f64 v[64:65], v[108:109], s[12:13], v[64:65]
	;; [unrolled: 1-line block ×7, first 2 shown]
	v_fma_f64 v[90:91], v[104:105], s[2:3], -v[24:25]
	v_mad_i32_i24 v24, 0xffffffb8, v201, v203
	v_add_f64_e32 v[108:109], v[10:11], v[22:23]
	ds_load_2addr_b64 v[4:7], v171 offset1:180
	v_add_f64_e32 v[124:125], v[44:45], v[42:43]
	v_fma_f64 v[74:75], v[96:97], s[12:13], v[102:103]
	v_fma_f64 v[78:79], v[98:99], s[12:13], v[106:107]
	;; [unrolled: 1-line block ×4, first 2 shown]
	v_fma_f64 v[52:53], v[72:73], s[6:7], -v[52:53]
	v_fma_f64 v[72:73], v[76:77], s[12:13], v[110:111]
	v_fma_f64 v[60:61], v[76:77], s[12:13], v[60:61]
	ds_load_b64 v[28:29], v114
	ds_load_b64 v[24:25], v24
	v_add_f64_e64 v[122:123], v[14:15], -v[18:19]
	v_add_f64_e64 v[185:186], v[70:71], -v[92:93]
	v_add_f64_e32 v[213:214], v[94:95], v[20:21]
	v_add_f64_e32 v[215:216], v[64:65], v[90:91]
	v_add_f64_e64 v[219:220], v[94:95], -v[20:21]
	v_add_f64_e64 v[221:222], v[64:65], -v[90:91]
	;; [unrolled: 1-line block ×3, first 2 shown]
	v_add_f64_e32 v[195:196], v[78:79], v[16:17]
	v_add_f64_e32 v[197:198], v[84:85], v[8:9]
	;; [unrolled: 1-line block ×3, first 2 shown]
	v_add_f64_e64 v[207:208], v[78:79], -v[16:17]
	v_add_f64_e64 v[209:210], v[84:85], -v[8:9]
	;; [unrolled: 1-line block ×3, first 2 shown]
	v_add_f64_e32 v[126:127], v[72:73], v[88:89]
	v_add_f64_e32 v[160:161], v[60:61], v[52:53]
	v_add_f64_e64 v[217:218], v[72:73], -v[88:89]
	v_add_f64_e64 v[223:224], v[60:61], -v[52:53]
	s_wait_loadcnt 0x2
	v_fma_f64 v[68:69], v[68:69], s[16:17], v[154:155]
	s_wait_loadcnt 0x1
	v_fma_f64 v[118:119], v[115:116], s[2:3], -v[162:163]
	v_add_f64_e64 v[114:115], v[22:23], -v[10:11]
	s_wait_loadcnt 0x0
	v_fma_f64 v[46:47], v[46:47], s[6:7], -v[164:165]
	v_add_f64_e32 v[164:165], v[70:71], v[92:93]
	v_add_f64_e32 v[116:117], v[18:19], v[14:15]
	v_add_f64_e64 v[162:163], v[42:43], -v[44:45]
	v_add_f64_e32 v[110:111], v[62:63], v[68:69]
	v_add_f64_e64 v[183:184], v[62:63], -v[68:69]
	;; [unrolled: 2-line block ×4, first 2 shown]
	v_add_f64_e32 v[118:119], v[74:75], v[12:13]
	ds_load_2addr_b64 v[104:107], v172 offset0:104 offset1:164
	ds_load_2addr_b64 v[100:103], v180 offset0:80 offset1:140
	ds_load_2addr_b64 v[96:99], v179 offset0:56 offset1:116
	ds_load_2addr_b64 v[92:95], v174 offset0:160 offset1:220
	ds_load_2addr_b64 v[88:91], v177 offset0:8 offset1:68
	ds_load_2addr_b64 v[76:79], v173 offset0:96 offset1:156
	ds_load_2addr_b64 v[72:75], v178 offset0:72 offset1:132
	ds_load_2addr_b64 v[68:71], v179 offset0:176 offset1:236
	ds_load_2addr_b64 v[60:63], v176 offset0:24 offset1:84
	ds_load_2addr_b64 v[44:47], v177 offset0:128 offset1:188
	ds_load_2addr_b64 v[0:3], v181 offset0:112 offset1:172
	ds_load_2addr_b64 v[40:43], v175 offset0:88 offset1:148
	ds_load_2addr_b64 v[20:23], v178 offset0:192 offset1:252
	ds_load_2addr_b64 v[16:19], v174 offset0:40 offset1:100
	ds_load_2addr_b64 v[12:15], v176 offset0:144 offset1:204
	ds_load_2addr_b64 v[8:11], v182 offset0:120 offset1:180
	global_wb scope:SCOPE_SE
	s_wait_dscnt 0x0
	s_barrier_signal -1
	s_barrier_wait -1
	global_inv scope:SCOPE_SE
	ds_store_b128 v204, v[108:111]
	ds_store_b128 v204, v[164:167] offset:16
	ds_store_b128 v204, v[112:115] offset:32
	ds_store_b128 v204, v[183:186] offset:48
	ds_store_b128 v204, v[187:190] offset:64
	ds_store_b128 v202, v[116:119]
	ds_store_b128 v202, v[195:198] offset:16
	ds_store_b128 v202, v[120:123] offset:32
	ds_store_b128 v202, v[205:208] offset:48
	ds_store_b128 v202, v[209:212] offset:64
	;; [unrolled: 5-line block ×3, first 2 shown]
	s_and_saveexec_b32 s1, s0
	s_cbranch_execz .LBB0_19
; %bb.18:
	v_add_f64_e32 v[36:37], v[58:59], v[82:83]
	v_add_f64_e32 v[52:53], v[50:51], v[34:35]
	;; [unrolled: 1-line block ×3, first 2 shown]
	v_add_f64_e64 v[32:33], v[32:33], -v[48:49]
	v_add_f64_e32 v[30:31], v[38:39], v[30:31]
	v_add_f64_e64 v[38:39], v[80:81], -v[56:57]
	s_mov_b32 s2, 0x134454ff
	s_mov_b32 s3, 0xbfee6f0e
	;; [unrolled: 1-line block ×3, first 2 shown]
	s_wait_alu 0xfffe
	s_mov_b32 s6, s2
	v_add_f64_e64 v[48:49], v[34:35], -v[82:83]
	v_add_f64_e64 v[34:35], v[82:83], -v[34:35]
	;; [unrolled: 1-line block ×3, first 2 shown]
	s_mov_b32 s15, 0x3fe2cf23
	v_mul_f64_e32 v[108:109], s[12:13], v[152:153]
	v_mul_f64_e32 v[110:111], s[16:17], v[144:145]
	v_fma_f64 v[36:37], v[36:37], -0.5, v[26:27]
	v_fma_f64 v[26:27], v[52:53], -0.5, v[26:27]
	v_add_f64_e64 v[52:53], v[50:51], -v[58:59]
	v_add_f64_e32 v[64:65], v[82:83], v[64:65]
	v_add_f64_e32 v[30:31], v[86:87], v[30:31]
	v_mul_f64_e32 v[86:87], s[2:3], v[148:149]
	v_add_f64_e32 v[34:35], v[56:57], v[34:35]
	v_fma_f64 v[80:81], v[32:33], s[2:3], v[36:37]
	s_wait_alu 0xfffe
	v_fma_f64 v[82:83], v[38:39], s[6:7], v[26:27]
	v_fma_f64 v[26:27], v[38:39], s[2:3], v[26:27]
	;; [unrolled: 1-line block ×3, first 2 shown]
	s_mov_b32 s6, 0x4755a5e
	s_mov_b32 s7, 0xbfe2cf23
	s_wait_alu 0xfffe
	s_mov_b32 s14, s6
	v_mul_f64_e32 v[84:85], s[6:7], v[156:157]
	v_add_f64_e32 v[48:49], v[52:53], v[48:49]
	v_add_f64_e32 v[52:53], v[58:59], v[64:65]
	;; [unrolled: 1-line block ×3, first 2 shown]
	v_fma_f64 v[64:65], v[140:141], s[12:13], v[86:87]
	v_fma_f64 v[66:67], v[132:133], s[2:3], -v[108:109]
	v_fma_f64 v[56:57], v[38:39], s[6:7], v[80:81]
	v_fma_f64 v[58:59], v[32:33], s[6:7], v[82:83]
	s_wait_alu 0xfffe
	v_fma_f64 v[26:27], v[32:33], s[14:15], v[26:27]
	v_fma_f64 v[32:33], v[38:39], s[14:15], v[36:37]
	v_fma_f64 v[80:81], v[128:129], s[6:7], -v[110:111]
	v_fma_f64 v[38:39], v[136:137], s[16:17], v[84:85]
	v_add_f64_e32 v[36:37], v[50:51], v[52:53]
	v_add_f64_e32 v[50:51], v[54:55], v[30:31]
	v_fma_f64 v[52:53], v[48:49], s[12:13], v[56:57]
	v_fma_f64 v[54:55], v[34:35], s[12:13], v[58:59]
	;; [unrolled: 1-line block ×4, first 2 shown]
	v_add_f64_e32 v[30:31], v[50:51], v[36:37]
	v_add_f64_e64 v[36:37], v[36:37], -v[50:51]
	v_add_f64_e32 v[32:33], v[52:53], v[38:39]
	v_add_f64_e32 v[48:49], v[54:55], v[64:65]
	;; [unrolled: 1-line block ×4, first 2 shown]
	v_add_f64_e64 v[52:53], v[52:53], -v[38:39]
	v_add_f64_e64 v[54:55], v[54:55], -v[64:65]
	;; [unrolled: 1-line block ×4, first 2 shown]
	v_mul_u32_u24_e32 v26, 10, v170
	s_delay_alu instid0(VALU_DEP_1)
	v_lshl_add_u32 v26, v26, 3, 0
	ds_store_b128 v26, v[30:33]
	ds_store_b128 v26, v[48:51] offset:16
	ds_store_b128 v26, v[34:37] offset:32
	;; [unrolled: 1-line block ×4, first 2 shown]
.LBB0_19:
	s_wait_alu 0xfffe
	s_or_b32 exec_lo, exec_lo, s1
	v_and_b32_e32 v26, 0xff, v194
	global_wb scope:SCOPE_SE
	s_wait_dscnt 0x0
	s_barrier_signal -1
	s_barrier_wait -1
	global_inv scope:SCOPE_SE
	v_mul_lo_u16 v26, 0xcd, v26
	ds_load_2addr_b64 v[34:37], v172 offset0:104 offset1:164
	v_and_b32_e32 v154, 0xff, v201
	v_and_b32_e32 v155, 0xff, v170
	v_add_nc_u32_e32 v169, 0xf0, v194
	v_lshrrev_b16 v152, 11, v26
	v_add_nc_u32_e32 v168, 0x12c, v194
	s_mov_b32 s0, 0xe8584caa
	s_mov_b32 s1, 0x3febb67a
	v_and_b32_e32 v156, 0xffff, v169
	v_mul_lo_u16 v26, v152, 10
	v_and_b32_e32 v157, 0xffff, v168
	s_mov_b32 s3, 0xbfebb67a
	s_wait_alu 0xfffe
	s_mov_b32 s2, s0
	v_add_nc_u32_e32 v183, v202, v158
	v_sub_nc_u16 v26, v194, v26
	v_add_nc_u32_e32 v184, v203, v159
	s_delay_alu instid0(VALU_DEP_2) | instskip(NEXT) | instid1(VALU_DEP_1)
	v_and_b32_e32 v153, 0xff, v26
	v_mul_u32_u24_e32 v26, 5, v153
	s_delay_alu instid0(VALU_DEP_1)
	v_lshlrev_b32_e32 v38, 4, v26
	s_clause 0x1
	global_load_b128 v[30:33], v38, s[4:5]
	global_load_b128 v[52:55], v38, s[4:5] offset:16
	s_wait_loadcnt_dscnt 0x100
	v_mul_f64_e32 v[26:27], v[34:35], v[32:33]
	s_delay_alu instid0(VALU_DEP_1) | instskip(SKIP_1) | instid1(VALU_DEP_1)
	v_fma_f64 v[58:59], v[104:105], v[30:31], -v[26:27]
	v_mul_f64_e32 v[26:27], v[104:105], v[32:33]
	v_fma_f64 v[26:27], v[34:35], v[30:31], v[26:27]
	v_and_b32_e32 v30, 0xff, v253
	s_delay_alu instid0(VALU_DEP_1) | instskip(NEXT) | instid1(VALU_DEP_1)
	v_mul_lo_u16 v30, 0xcd, v30
	v_lshrrev_b16 v162, 11, v30
	s_delay_alu instid0(VALU_DEP_1) | instskip(NEXT) | instid1(VALU_DEP_1)
	v_mul_lo_u16 v30, v162, 10
	v_sub_nc_u16 v30, v253, v30
	s_delay_alu instid0(VALU_DEP_1) | instskip(NEXT) | instid1(VALU_DEP_1)
	v_and_b32_e32 v163, 0xff, v30
	v_mul_u32_u24_e32 v30, 5, v163
	s_delay_alu instid0(VALU_DEP_1)
	v_lshlrev_b32_e32 v48, 4, v30
	s_clause 0x1
	global_load_b128 v[30:33], v48, s[4:5]
	global_load_b128 v[108:111], v38, s[4:5] offset:64
	s_wait_loadcnt 0x1
	v_mul_f64_e32 v[34:35], v[36:37], v[32:33]
	v_mul_f64_e32 v[32:33], v[106:107], v[32:33]
	s_delay_alu instid0(VALU_DEP_2) | instskip(NEXT) | instid1(VALU_DEP_2)
	v_fma_f64 v[50:51], v[106:107], v[30:31], -v[34:35]
	v_fma_f64 v[80:81], v[36:37], v[30:31], v[32:33]
	ds_load_2addr_b64 v[34:37], v180 offset0:80 offset1:140
	s_wait_dscnt 0x0
	v_mul_f64_e32 v[30:31], v[34:35], v[54:55]
	s_delay_alu instid0(VALU_DEP_1) | instskip(SKIP_1) | instid1(VALU_DEP_1)
	v_fma_f64 v[32:33], v[100:101], v[52:53], -v[30:31]
	v_mul_f64_e32 v[30:31], v[100:101], v[54:55]
	v_fma_f64 v[30:31], v[34:35], v[52:53], v[30:31]
	s_clause 0x1
	global_load_b128 v[52:55], v48, s[4:5] offset:16
	global_load_b128 v[104:107], v48, s[4:5] offset:32
	s_wait_loadcnt 0x1
	v_mul_f64_e32 v[34:35], v[36:37], v[54:55]
	s_delay_alu instid0(VALU_DEP_1) | instskip(SKIP_1) | instid1(VALU_DEP_1)
	v_fma_f64 v[84:85], v[102:103], v[52:53], -v[34:35]
	v_mul_f64_e32 v[34:35], v[102:103], v[54:55]
	v_fma_f64 v[82:83], v[36:37], v[52:53], v[34:35]
	s_clause 0x1
	global_load_b128 v[34:37], v38, s[4:5] offset:32
	global_load_b128 v[54:57], v38, s[4:5] offset:48
	ds_load_2addr_b64 v[100:103], v179 offset0:56 offset1:116
	s_wait_loadcnt_dscnt 0x100
	v_mul_f64_e32 v[38:39], v[100:101], v[36:37]
	v_mul_f64_e32 v[36:37], v[96:97], v[36:37]
	s_delay_alu instid0(VALU_DEP_2) | instskip(NEXT) | instid1(VALU_DEP_2)
	v_fma_f64 v[66:67], v[96:97], v[34:35], -v[38:39]
	v_fma_f64 v[34:35], v[100:101], v[34:35], v[36:37]
	v_mul_f64_e32 v[36:37], v[102:103], v[106:107]
	s_delay_alu instid0(VALU_DEP_1)
	v_fma_f64 v[52:53], v[98:99], v[104:105], -v[36:37]
	v_mul_f64_e32 v[36:37], v[98:99], v[106:107]
	ds_load_2addr_b64 v[96:99], v174 offset0:160 offset1:220
	v_fma_f64 v[86:87], v[102:103], v[104:105], v[36:37]
	s_wait_loadcnt_dscnt 0x0
	v_mul_f64_e32 v[36:37], v[96:97], v[56:57]
	s_delay_alu instid0(VALU_DEP_1) | instskip(SKIP_1) | instid1(VALU_DEP_2)
	v_fma_f64 v[38:39], v[92:93], v[54:55], -v[36:37]
	v_mul_f64_e32 v[36:37], v[92:93], v[56:57]
	v_add_f64_e64 v[222:223], v[32:33], -v[38:39]
	s_delay_alu instid0(VALU_DEP_2)
	v_fma_f64 v[36:37], v[96:97], v[54:55], v[36:37]
	s_clause 0x1
	global_load_b128 v[54:57], v48, s[4:5] offset:48
	global_load_b128 v[100:103], v48, s[4:5] offset:64
	s_wait_loadcnt 0x1
	v_mul_f64_e32 v[48:49], v[98:99], v[56:57]
	s_delay_alu instid0(VALU_DEP_1) | instskip(SKIP_1) | instid1(VALU_DEP_1)
	v_fma_f64 v[96:97], v[94:95], v[54:55], -v[48:49]
	v_mul_f64_e32 v[48:49], v[94:95], v[56:57]
	v_fma_f64 v[92:93], v[98:99], v[54:55], v[48:49]
	ds_load_2addr_b64 v[54:57], v177 offset0:8 offset1:68
	s_wait_dscnt 0x0
	v_mul_f64_e32 v[48:49], v[54:55], v[110:111]
	s_delay_alu instid0(VALU_DEP_1) | instskip(SKIP_3) | instid1(VALU_DEP_2)
	v_fma_f64 v[64:65], v[88:89], v[108:109], -v[48:49]
	v_mul_f64_e32 v[48:49], v[88:89], v[110:111]
	s_wait_loadcnt 0x0
	v_mul_f64_e32 v[88:89], v[90:91], v[102:103]
	v_fma_f64 v[48:49], v[54:55], v[108:109], v[48:49]
	v_mul_f64_e32 v[54:55], v[56:57], v[102:103]
	s_delay_alu instid0(VALU_DEP_3) | instskip(SKIP_3) | instid1(VALU_DEP_1)
	v_fma_f64 v[88:89], v[56:57], v[100:101], v[88:89]
	v_mul_lo_u16 v56, 0xcd, v154
	ds_load_2addr_b64 v[102:105], v173 offset0:96 offset1:156
	v_lshrrev_b16 v166, 11, v56
	v_mul_lo_u16 v56, v166, 10
	s_delay_alu instid0(VALU_DEP_1) | instskip(NEXT) | instid1(VALU_DEP_1)
	v_sub_nc_u16 v56, v201, v56
	v_and_b32_e32 v167, 0xff, v56
	s_delay_alu instid0(VALU_DEP_1) | instskip(NEXT) | instid1(VALU_DEP_1)
	v_mul_u32_u24_e32 v56, 5, v167
	v_lshlrev_b32_e32 v112, 4, v56
	global_load_b128 v[108:111], v112, s[4:5] offset:16
	v_fma_f64 v[54:55], v[90:91], v[100:101], -v[54:55]
	global_load_b128 v[98:101], v112, s[4:5]
	s_wait_loadcnt_dscnt 0x0
	v_mul_f64_e32 v[56:57], v[102:103], v[100:101]
	s_delay_alu instid0(VALU_DEP_1) | instskip(SKIP_1) | instid1(VALU_DEP_1)
	v_fma_f64 v[56:57], v[76:77], v[98:99], -v[56:57]
	v_mul_f64_e32 v[76:77], v[76:77], v[100:101]
	v_fma_f64 v[90:91], v[102:103], v[98:99], v[76:77]
	v_mul_lo_u16 v76, 0xcd, v155
	s_delay_alu instid0(VALU_DEP_1) | instskip(NEXT) | instid1(VALU_DEP_1)
	v_lshrrev_b16 v164, 11, v76
	v_mul_lo_u16 v76, v164, 10
	s_delay_alu instid0(VALU_DEP_1) | instskip(NEXT) | instid1(VALU_DEP_1)
	v_sub_nc_u16 v76, v170, v76
	v_and_b32_e32 v165, 0xff, v76
	s_delay_alu instid0(VALU_DEP_1) | instskip(NEXT) | instid1(VALU_DEP_1)
	v_mul_u32_u24_e32 v76, 5, v165
	v_lshlrev_b32_e32 v126, 4, v76
	s_clause 0x1
	global_load_b128 v[98:101], v126, s[4:5]
	global_load_b128 v[118:121], v112, s[4:5] offset:64
	s_wait_loadcnt 0x1
	v_mul_f64_e32 v[76:77], v[104:105], v[100:101]
	s_delay_alu instid0(VALU_DEP_1) | instskip(SKIP_1) | instid1(VALU_DEP_1)
	v_fma_f64 v[76:77], v[78:79], v[98:99], -v[76:77]
	v_mul_f64_e32 v[78:79], v[78:79], v[100:101]
	v_fma_f64 v[94:95], v[104:105], v[98:99], v[78:79]
	ds_load_2addr_b64 v[98:101], v178 offset0:72 offset1:132
	s_wait_dscnt 0x0
	v_mul_f64_e32 v[78:79], v[98:99], v[110:111]
	s_delay_alu instid0(VALU_DEP_1) | instskip(SKIP_1) | instid1(VALU_DEP_1)
	v_fma_f64 v[106:107], v[72:73], v[108:109], -v[78:79]
	v_mul_f64_e32 v[72:73], v[72:73], v[110:111]
	v_fma_f64 v[104:105], v[98:99], v[108:109], v[72:73]
	s_clause 0x1
	global_load_b128 v[108:111], v126, s[4:5] offset:16
	global_load_b128 v[114:117], v126, s[4:5] offset:32
	s_wait_loadcnt 0x1
	v_mul_f64_e32 v[72:73], v[100:101], v[110:111]
	s_delay_alu instid0(VALU_DEP_1) | instskip(SKIP_1) | instid1(VALU_DEP_1)
	v_fma_f64 v[98:99], v[74:75], v[108:109], -v[72:73]
	v_mul_f64_e32 v[72:73], v[74:75], v[110:111]
	v_fma_f64 v[100:101], v[100:101], v[108:109], v[72:73]
	s_clause 0x1
	global_load_b128 v[72:75], v112, s[4:5] offset:32
	global_load_b128 v[108:111], v112, s[4:5] offset:48
	ds_load_2addr_b64 v[122:125], v179 offset0:176 offset1:236
	s_wait_loadcnt_dscnt 0x100
	v_mul_f64_e32 v[78:79], v[122:123], v[74:75]
	s_delay_alu instid0(VALU_DEP_1) | instskip(SKIP_1) | instid1(VALU_DEP_1)
	v_fma_f64 v[148:149], v[68:69], v[72:73], -v[78:79]
	v_mul_f64_e32 v[68:69], v[68:69], v[74:75]
	v_fma_f64 v[112:113], v[122:123], v[72:73], v[68:69]
	v_mul_f64_e32 v[68:69], v[124:125], v[116:117]
	s_delay_alu instid0(VALU_DEP_1) | instskip(SKIP_1) | instid1(VALU_DEP_1)
	v_fma_f64 v[78:79], v[70:71], v[114:115], -v[68:69]
	v_mul_f64_e32 v[68:69], v[70:71], v[116:117]
	v_fma_f64 v[102:103], v[124:125], v[114:115], v[68:69]
	ds_load_2addr_b64 v[68:71], v176 offset0:24 offset1:84
	s_wait_loadcnt_dscnt 0x0
	v_mul_f64_e32 v[72:73], v[68:69], v[110:111]
	s_delay_alu instid0(VALU_DEP_1) | instskip(SKIP_4) | instid1(VALU_DEP_1)
	v_fma_f64 v[116:117], v[60:61], v[108:109], -v[72:73]
	s_clause 0x1
	global_load_b128 v[72:75], v126, s[4:5] offset:48
	global_load_b128 v[122:125], v126, s[4:5] offset:64
	v_mul_f64_e32 v[60:61], v[60:61], v[110:111]
	v_fma_f64 v[114:115], v[68:69], v[108:109], v[60:61]
	s_wait_loadcnt 0x1
	v_mul_f64_e32 v[60:61], v[70:71], v[74:75]
	s_delay_alu instid0(VALU_DEP_1) | instskip(SKIP_1) | instid1(VALU_DEP_1)
	v_fma_f64 v[108:109], v[62:63], v[72:73], -v[60:61]
	v_mul_f64_e32 v[60:61], v[62:63], v[74:75]
	v_fma_f64 v[110:111], v[70:71], v[72:73], v[60:61]
	ds_load_2addr_b64 v[68:71], v177 offset0:128 offset1:188
	ds_load_2addr_b64 v[72:75], v175 offset0:88 offset1:148
	s_wait_dscnt 0x1
	v_mul_f64_e32 v[60:61], v[68:69], v[120:121]
	s_delay_alu instid0(VALU_DEP_1) | instskip(SKIP_1) | instid1(VALU_DEP_1)
	v_fma_f64 v[60:61], v[44:45], v[118:119], -v[60:61]
	v_mul_f64_e32 v[44:45], v[44:45], v[120:121]
	v_fma_f64 v[120:121], v[68:69], v[118:119], v[44:45]
	s_wait_loadcnt 0x0
	v_mul_f64_e32 v[44:45], v[70:71], v[124:125]
	s_delay_alu instid0(VALU_DEP_1) | instskip(SKIP_1) | instid1(VALU_DEP_1)
	v_fma_f64 v[44:45], v[46:47], v[122:123], -v[44:45]
	v_mul_f64_e32 v[46:47], v[46:47], v[124:125]
	v_fma_f64 v[118:119], v[70:71], v[122:123], v[46:47]
	v_mul_u32_u24_e32 v46, 0xcccd, v156
	s_delay_alu instid0(VALU_DEP_1) | instskip(NEXT) | instid1(VALU_DEP_1)
	v_lshrrev_b32_e32 v62, 19, v46
	v_mul_lo_u16 v46, v62, 10
	s_delay_alu instid0(VALU_DEP_1) | instskip(NEXT) | instid1(VALU_DEP_1)
	v_sub_nc_u16 v46, v169, v46
	v_and_b32_e32 v63, 0xffff, v46
	s_delay_alu instid0(VALU_DEP_1) | instskip(NEXT) | instid1(VALU_DEP_1)
	v_mul_u32_u24_e32 v46, 5, v63
	v_lshlrev_b32_e32 v130, 4, v46
	s_clause 0x1
	global_load_b128 v[68:71], v130, s[4:5]
	global_load_b128 v[126:129], v130, s[4:5] offset:16
	s_wait_loadcnt_dscnt 0x100
	v_mul_f64_e32 v[46:47], v[72:73], v[70:71]
	s_delay_alu instid0(VALU_DEP_1) | instskip(SKIP_1) | instid1(VALU_DEP_1)
	v_fma_f64 v[46:47], v[40:41], v[68:69], -v[46:47]
	v_mul_f64_e32 v[40:41], v[40:41], v[70:71]
	v_fma_f64 v[122:123], v[72:73], v[68:69], v[40:41]
	v_mul_u32_u24_e32 v40, 0xcccd, v157
	s_delay_alu instid0(VALU_DEP_1) | instskip(NEXT) | instid1(VALU_DEP_1)
	v_lshrrev_b32_e32 v185, 19, v40
	v_mul_lo_u16 v40, v185, 10
	s_delay_alu instid0(VALU_DEP_1) | instskip(NEXT) | instid1(VALU_DEP_1)
	v_sub_nc_u16 v40, v168, v40
	v_and_b32_e32 v186, 0xffff, v40
	s_delay_alu instid0(VALU_DEP_1) | instskip(NEXT) | instid1(VALU_DEP_1)
	v_mul_u32_u24_e32 v40, 5, v186
	v_lshlrev_b32_e32 v142, 4, v40
	s_clause 0x1
	global_load_b128 v[68:71], v142, s[4:5]
	global_load_b128 v[187:190], v130, s[4:5] offset:64
	s_wait_loadcnt 0x1
	v_mul_f64_e32 v[40:41], v[74:75], v[70:71]
	s_delay_alu instid0(VALU_DEP_1) | instskip(SKIP_1) | instid1(VALU_DEP_1)
	v_fma_f64 v[40:41], v[42:43], v[68:69], -v[40:41]
	v_mul_f64_e32 v[42:43], v[42:43], v[70:71]
	v_fma_f64 v[124:125], v[74:75], v[68:69], v[42:43]
	ds_load_2addr_b64 v[68:71], v178 offset0:192 offset1:252
	s_clause 0x1
	global_load_b128 v[72:75], v142, s[4:5] offset:16
	global_load_b128 v[136:139], v142, s[4:5] offset:32
	s_wait_dscnt 0x0
	v_mul_f64_e32 v[42:43], v[68:69], v[128:129]
	s_delay_alu instid0(VALU_DEP_1) | instskip(SKIP_1) | instid1(VALU_DEP_1)
	v_fma_f64 v[134:135], v[20:21], v[126:127], -v[42:43]
	v_mul_f64_e32 v[20:21], v[20:21], v[128:129]
	v_fma_f64 v[132:133], v[68:69], v[126:127], v[20:21]
	s_wait_loadcnt 0x1
	v_mul_f64_e32 v[20:21], v[70:71], v[74:75]
	s_delay_alu instid0(VALU_DEP_1) | instskip(SKIP_1) | instid1(VALU_DEP_1)
	v_fma_f64 v[126:127], v[22:23], v[72:73], -v[20:21]
	v_mul_f64_e32 v[20:21], v[22:23], v[74:75]
	v_fma_f64 v[128:129], v[70:71], v[72:73], v[20:21]
	s_clause 0x1
	global_load_b128 v[20:23], v130, s[4:5] offset:32
	global_load_b128 v[68:71], v130, s[4:5] offset:48
	ds_load_2addr_b64 v[72:75], v174 offset0:40 offset1:100
	s_wait_loadcnt_dscnt 0x100
	v_mul_f64_e32 v[42:43], v[72:73], v[22:23]
	s_delay_alu instid0(VALU_DEP_1) | instskip(SKIP_1) | instid1(VALU_DEP_1)
	v_fma_f64 v[42:43], v[16:17], v[20:21], -v[42:43]
	v_mul_f64_e32 v[16:17], v[16:17], v[22:23]
	v_fma_f64 v[140:141], v[72:73], v[20:21], v[16:17]
	v_mul_f64_e32 v[16:17], v[74:75], v[138:139]
	s_delay_alu instid0(VALU_DEP_1) | instskip(SKIP_1) | instid1(VALU_DEP_1)
	v_fma_f64 v[160:161], v[18:19], v[136:137], -v[16:17]
	v_mul_f64_e32 v[16:17], v[18:19], v[138:139]
	v_fma_f64 v[130:131], v[74:75], v[136:137], v[16:17]
	ds_load_2addr_b64 v[16:19], v176 offset0:144 offset1:204
	s_wait_loadcnt_dscnt 0x0
	v_mul_f64_e32 v[20:21], v[16:17], v[70:71]
	s_delay_alu instid0(VALU_DEP_1) | instskip(SKIP_1) | instid1(VALU_DEP_1)
	v_fma_f64 v[146:147], v[12:13], v[68:69], -v[20:21]
	v_mul_f64_e32 v[12:13], v[12:13], v[70:71]
	v_fma_f64 v[144:145], v[16:17], v[68:69], v[12:13]
	s_clause 0x1
	global_load_b128 v[20:23], v142, s[4:5] offset:48
	global_load_b128 v[68:71], v142, s[4:5] offset:64
	s_wait_loadcnt 0x1
	v_mul_f64_e32 v[12:13], v[18:19], v[22:23]
	s_delay_alu instid0(VALU_DEP_1) | instskip(SKIP_2) | instid1(VALU_DEP_2)
	v_fma_f64 v[136:137], v[14:15], v[20:21], -v[12:13]
	v_mul_f64_e32 v[12:13], v[14:15], v[22:23]
	v_add_f64_e32 v[22:23], v[32:33], v[38:39]
	v_fma_f64 v[138:139], v[18:19], v[20:21], v[12:13]
	ds_load_2addr_b64 v[12:15], v182 offset0:120 offset1:180
	v_add_f64_e32 v[20:21], v[34:35], v[48:49]
	v_and_b32_e32 v18, 0xffff, v152
	v_lshlrev_b32_e32 v19, 3, v153
	s_delay_alu instid0(VALU_DEP_2) | instskip(NEXT) | instid1(VALU_DEP_1)
	v_mul_u32_u24_e32 v18, 0x1e0, v18
	v_add3_u32 v193, 0, v18, v19
	v_add_f64_e32 v[18:19], v[4:5], v[32:33]
	v_fma_f64 v[4:5], v[22:23], -0.5, v[4:5]
	v_add_f64_e64 v[22:23], v[34:35], -v[48:49]
	s_wait_dscnt 0x0
	v_mul_f64_e32 v[16:17], v[12:13], v[189:190]
	v_fma_f64 v[20:21], v[20:21], -0.5, v[26:27]
	v_add_f64_e32 v[18:19], v[18:19], v[38:39]
	s_delay_alu instid0(VALU_DEP_3) | instskip(SKIP_1) | instid1(VALU_DEP_1)
	v_fma_f64 v[16:17], v[8:9], v[187:188], -v[16:17]
	v_mul_f64_e32 v[8:9], v[8:9], v[189:190]
	v_fma_f64 v[150:151], v[12:13], v[187:188], v[8:9]
	s_wait_loadcnt 0x0
	v_mul_f64_e32 v[8:9], v[14:15], v[70:71]
	v_add_f64_e32 v[12:13], v[66:67], v[64:65]
	v_add_f64_e64 v[187:188], v[30:31], -v[36:37]
	s_delay_alu instid0(VALU_DEP_3) | instskip(SKIP_1) | instid1(VALU_DEP_4)
	v_fma_f64 v[8:9], v[10:11], v[68:69], -v[8:9]
	v_mul_f64_e32 v[10:11], v[10:11], v[70:71]
	v_fma_f64 v[12:13], v[12:13], -0.5, v[58:59]
	s_delay_alu instid0(VALU_DEP_4) | instskip(SKIP_2) | instid1(VALU_DEP_4)
	v_fma_f64 v[189:190], v[187:188], s[0:1], v[4:5]
	s_wait_alu 0xfffe
	v_fma_f64 v[4:5], v[187:188], s[2:3], v[4:5]
	v_fma_f64 v[142:143], v[14:15], v[68:69], v[10:11]
	v_add_f64_e64 v[14:15], v[66:67], -v[64:65]
	v_add_f64_e32 v[10:11], v[58:59], v[66:67]
	ds_load_b64 v[158:159], v183
	ds_load_b64 v[152:153], v184
	ds_load_2addr_b64 v[72:75], v171 offset1:180
	ds_load_2addr_b64 v[68:71], v181 offset0:112 offset1:172
	global_wb scope:SCOPE_SE
	s_wait_dscnt 0x0
	s_barrier_signal -1
	s_barrier_wait -1
	global_inv scope:SCOPE_SE
	v_fma_f64 v[58:59], v[14:15], s[2:3], v[20:21]
	v_add_f64_e32 v[10:11], v[10:11], v[64:65]
	v_fma_f64 v[64:65], v[22:23], s[0:1], v[12:13]
	v_fma_f64 v[187:188], v[14:15], s[0:1], v[20:21]
	v_add_f64_e32 v[20:21], v[86:87], v[88:89]
	v_mul_f64_e32 v[66:67], s[0:1], v[58:59]
	v_add_f64_e32 v[191:192], v[18:19], v[10:11]
	v_add_f64_e64 v[10:11], v[18:19], -v[10:11]
	v_add_f64_e32 v[18:19], v[28:29], v[84:85]
	v_fma_f64 v[20:21], v[20:21], -0.5, v[80:81]
	v_add_f64_e32 v[80:81], v[80:81], v[86:87]
	v_fma_f64 v[66:67], v[64:65], 0.5, v[66:67]
	s_delay_alu instid0(VALU_DEP_4) | instskip(NEXT) | instid1(VALU_DEP_3)
	v_add_f64_e32 v[18:19], v[18:19], v[96:97]
	v_add_f64_e32 v[80:81], v[80:81], v[88:89]
	s_delay_alu instid0(VALU_DEP_3) | instskip(SKIP_3) | instid1(VALU_DEP_2)
	v_add_f64_e32 v[195:196], v[189:190], v[66:67]
	ds_store_2addr_b64 v193, v[191:192], v[195:196] offset1:10
	v_fma_f64 v[191:192], v[22:23], s[2:3], v[12:13]
	v_add_f64_e64 v[22:23], v[86:87], -v[88:89]
	v_mul_f64_e32 v[12:13], -0.5, v[191:192]
	s_delay_alu instid0(VALU_DEP_1) | instskip(SKIP_1) | instid1(VALU_DEP_2)
	v_fma_f64 v[12:13], v[187:188], s[0:1], v[12:13]
	v_mul_f64_e32 v[187:188], -0.5, v[187:188]
	v_add_f64_e32 v[14:15], v[4:5], v[12:13]
	v_add_f64_e64 v[4:5], v[4:5], -v[12:13]
	v_add_f64_e64 v[12:13], v[52:53], -v[54:55]
	s_delay_alu instid0(VALU_DEP_4)
	v_fma_f64 v[187:188], v[191:192], s[2:3], v[187:188]
	ds_store_2addr_b64 v193, v[14:15], v[10:11] offset0:20 offset1:30
	v_add_f64_e64 v[10:11], v[189:190], -v[66:67]
	v_and_b32_e32 v14, 0xffff, v162
	v_lshlrev_b32_e32 v15, 3, v163
	v_fma_f64 v[162:163], v[12:13], s[2:3], v[20:21]
	v_fma_f64 v[197:198], v[12:13], s[0:1], v[20:21]
	v_add_f64_e32 v[20:21], v[112:113], v[120:121]
	v_mul_u32_u24_e32 v14, 0x1e0, v14
	s_delay_alu instid0(VALU_DEP_1)
	v_add3_u32 v236, 0, v14, v15
	v_add_f64_e32 v[14:15], v[84:85], v[96:97]
	ds_store_2addr_b64 v193, v[10:11], v[4:5] offset0:40 offset1:50
	v_add_f64_e32 v[10:11], v[52:53], v[54:55]
	v_add_f64_e32 v[4:5], v[50:51], v[52:53]
	v_fma_f64 v[20:21], v[20:21], -0.5, v[90:91]
	v_fma_f64 v[14:15], v[14:15], -0.5, v[28:29]
	v_mul_f64_e32 v[28:29], s[0:1], v[162:163]
	v_fma_f64 v[10:11], v[10:11], -0.5, v[50:51]
	v_add_f64_e64 v[50:51], v[82:83], -v[92:93]
	v_add_f64_e32 v[4:5], v[4:5], v[54:55]
	s_delay_alu instid0(VALU_DEP_3) | instskip(SKIP_1) | instid1(VALU_DEP_4)
	v_fma_f64 v[195:196], v[22:23], s[2:3], v[10:11]
	v_fma_f64 v[189:190], v[22:23], s[0:1], v[10:11]
	;; [unrolled: 1-line block ×4, first 2 shown]
	v_add_f64_e32 v[54:55], v[18:19], v[4:5]
	v_add_f64_e64 v[4:5], v[18:19], -v[4:5]
	v_add_f64_e64 v[22:23], v[112:113], -v[120:121]
	v_add_f64_e32 v[18:19], v[24:25], v[106:107]
	v_mul_f64_e32 v[12:13], -0.5, v[195:196]
	v_fma_f64 v[28:29], v[189:190], 0.5, v[28:29]
	v_mul_f64_e32 v[86:87], s[2:3], v[189:190]
	s_delay_alu instid0(VALU_DEP_4) | instskip(NEXT) | instid1(VALU_DEP_4)
	v_add_f64_e32 v[18:19], v[18:19], v[116:117]
	v_fma_f64 v[12:13], v[197:198], s[0:1], v[12:13]
	s_delay_alu instid0(VALU_DEP_4) | instskip(NEXT) | instid1(VALU_DEP_4)
	v_add_f64_e32 v[66:67], v[52:53], v[28:29]
	v_fma_f64 v[86:87], v[162:163], 0.5, v[86:87]
	s_delay_alu instid0(VALU_DEP_3)
	v_add_f64_e32 v[14:15], v[10:11], v[12:13]
	v_add_f64_e64 v[10:11], v[10:11], -v[12:13]
	v_add_f64_e64 v[12:13], v[148:149], -v[60:61]
	ds_store_2addr_b64 v236, v[54:55], v[66:67] offset1:10
	ds_store_2addr_b64 v236, v[14:15], v[4:5] offset0:20 offset1:30
	v_add_f64_e64 v[4:5], v[52:53], -v[28:29]
	v_and_b32_e32 v14, 0xffff, v166
	v_lshlrev_b32_e32 v15, 3, v167
	v_add_f64_e64 v[28:29], v[104:105], -v[114:115]
	v_fma_f64 v[202:203], v[12:13], s[0:1], v[20:21]
	s_delay_alu instid0(VALU_DEP_4) | instskip(NEXT) | instid1(VALU_DEP_1)
	v_mul_u32_u24_e32 v14, 0x1e0, v14
	v_add3_u32 v237, 0, v14, v15
	v_add_f64_e32 v[14:15], v[106:107], v[116:117]
	ds_store_2addr_b64 v236, v[4:5], v[10:11] offset0:40 offset1:50
	v_add_f64_e32 v[10:11], v[148:149], v[60:61]
	v_add_f64_e32 v[4:5], v[56:57], v[148:149]
	v_fma_f64 v[148:149], v[12:13], s[2:3], v[20:21]
	v_add_f64_e64 v[20:21], v[102:103], -v[118:119]
	v_fma_f64 v[14:15], v[14:15], -0.5, v[24:25]
	v_fma_f64 v[10:11], v[10:11], -0.5, v[56:57]
	v_add_f64_e32 v[4:5], v[4:5], v[60:61]
	v_mul_f64_e32 v[24:25], s[0:1], v[148:149]
	s_delay_alu instid0(VALU_DEP_4) | instskip(NEXT) | instid1(VALU_DEP_4)
	v_fma_f64 v[50:51], v[28:29], s[0:1], v[14:15]
	v_fma_f64 v[199:200], v[22:23], s[2:3], v[10:11]
	;; [unrolled: 1-line block ×4, first 2 shown]
	v_add_f64_e32 v[52:53], v[18:19], v[4:5]
	v_add_f64_e64 v[4:5], v[18:19], -v[4:5]
	v_and_b32_e32 v18, 0xffff, v164
	v_lshlrev_b32_e32 v19, 3, v165
	s_delay_alu instid0(VALU_DEP_2) | instskip(NEXT) | instid1(VALU_DEP_1)
	v_mul_u32_u24_e32 v18, 0x1e0, v18
	v_add3_u32 v238, 0, v18, v19
	v_add_f64_e32 v[18:19], v[102:103], v[118:119]
	v_mul_f64_e32 v[12:13], -0.5, v[199:200]
	v_fma_f64 v[24:25], v[166:167], 0.5, v[24:25]
	s_delay_alu instid0(VALU_DEP_3) | instskip(NEXT) | instid1(VALU_DEP_3)
	v_fma_f64 v[18:19], v[18:19], -0.5, v[94:95]
	v_fma_f64 v[12:13], v[202:203], s[0:1], v[12:13]
	s_delay_alu instid0(VALU_DEP_3) | instskip(NEXT) | instid1(VALU_DEP_2)
	v_add_f64_e32 v[54:55], v[50:51], v[24:25]
	v_add_f64_e32 v[14:15], v[10:11], v[12:13]
	v_add_f64_e64 v[10:11], v[10:11], -v[12:13]
	v_add_f64_e32 v[12:13], v[78:79], v[44:45]
	ds_store_2addr_b64 v237, v[52:53], v[54:55] offset1:10
	ds_store_2addr_b64 v237, v[14:15], v[4:5] offset0:20 offset1:30
	v_add_f64_e64 v[4:5], v[50:51], -v[24:25]
	v_fma_f64 v[12:13], v[12:13], -0.5, v[76:77]
	v_add_f64_e64 v[14:15], v[78:79], -v[44:45]
	v_add_f64_e64 v[24:25], v[100:101], -v[110:111]
	ds_store_2addr_b64 v237, v[4:5], v[10:11] offset0:40 offset1:50
	v_add_f64_e32 v[4:5], v[98:99], v[108:109]
	v_add_f64_e32 v[10:11], v[76:77], v[78:79]
	v_fma_f64 v[206:207], v[20:21], s[2:3], v[12:13]
	v_fma_f64 v[164:165], v[14:15], s[2:3], v[18:19]
	;; [unrolled: 1-line block ×4, first 2 shown]
	v_add_f64_e32 v[14:15], v[140:141], v[150:151]
	v_add_f64_e64 v[20:21], v[132:133], -v[144:145]
	v_fma_f64 v[4:5], v[4:5], -0.5, v[6:7]
	v_add_f64_e32 v[6:7], v[6:7], v[98:99]
	v_add_f64_e32 v[10:11], v[10:11], v[44:45]
	v_mul_f64_e32 v[22:23], s[0:1], v[164:165]
	v_fma_f64 v[14:15], v[14:15], -0.5, v[122:123]
	v_fma_f64 v[28:29], v[24:25], s[0:1], v[4:5]
	v_add_f64_e32 v[6:7], v[6:7], v[108:109]
	v_fma_f64 v[4:5], v[24:25], s[2:3], v[4:5]
	v_fma_f64 v[22:23], v[204:205], 0.5, v[22:23]
	s_delay_alu instid0(VALU_DEP_3) | instskip(SKIP_2) | instid1(VALU_DEP_4)
	v_add_f64_e32 v[44:45], v[6:7], v[10:11]
	v_add_f64_e64 v[6:7], v[6:7], -v[10:11]
	v_mul_f64_e32 v[10:11], -0.5, v[206:207]
	v_add_f64_e32 v[50:51], v[28:29], v[22:23]
	s_delay_alu instid0(VALU_DEP_2)
	v_fma_f64 v[10:11], v[208:209], s[0:1], v[10:11]
	ds_store_2addr_b64 v238, v[44:45], v[50:51] offset1:10
	v_add_f64_e32 v[12:13], v[4:5], v[10:11]
	v_add_f64_e64 v[4:5], v[4:5], -v[10:11]
	v_add_f64_e64 v[10:11], v[42:43], -v[16:17]
	ds_store_2addr_b64 v238, v[12:13], v[6:7] offset0:20 offset1:30
	v_add_f64_e64 v[6:7], v[28:29], -v[22:23]
	v_mul_u32_u24_e32 v12, 0x1e0, v62
	v_lshlrev_b32_e32 v13, 3, v63
	v_fma_f64 v[210:211], v[10:11], s[2:3], v[14:15]
	v_fma_f64 v[216:217], v[10:11], s[0:1], v[14:15]
	s_delay_alu instid0(VALU_DEP_3)
	v_add3_u32 v239, 0, v12, v13
	v_add_f64_e32 v[12:13], v[0:1], v[134:135]
	ds_store_2addr_b64 v238, v[6:7], v[4:5] offset0:40 offset1:50
	v_add_f64_e32 v[6:7], v[46:47], v[42:43]
	v_add_f64_e32 v[4:5], v[42:43], v[16:17]
	v_mul_f64_e32 v[18:19], s[0:1], v[210:211]
	v_add_f64_e32 v[12:13], v[12:13], v[146:147]
	s_delay_alu instid0(VALU_DEP_4) | instskip(SKIP_2) | instid1(VALU_DEP_3)
	v_add_f64_e32 v[6:7], v[6:7], v[16:17]
	v_add_f64_e32 v[16:17], v[134:135], v[146:147]
	v_fma_f64 v[4:5], v[4:5], -0.5, v[46:47]
	v_add_f64_e32 v[24:25], v[12:13], v[6:7]
	s_delay_alu instid0(VALU_DEP_3) | instskip(SKIP_1) | instid1(VALU_DEP_2)
	v_fma_f64 v[0:1], v[16:17], -0.5, v[0:1]
	v_add_f64_e64 v[16:17], v[140:141], -v[150:151]
	v_fma_f64 v[22:23], v[20:21], s[0:1], v[0:1]
	s_delay_alu instid0(VALU_DEP_2)
	v_fma_f64 v[214:215], v[16:17], s[2:3], v[4:5]
	v_fma_f64 v[212:213], v[16:17], s[0:1], v[4:5]
	v_add_f64_e64 v[4:5], v[12:13], -v[6:7]
	v_fma_f64 v[0:1], v[20:21], s[2:3], v[0:1]
	v_add_f64_e64 v[12:13], v[130:131], -v[142:143]
	v_add_f64_e64 v[16:17], v[128:129], -v[138:139]
	v_mul_f64_e32 v[6:7], -0.5, v[214:215]
	v_fma_f64 v[18:19], v[212:213], 0.5, v[18:19]
	s_delay_alu instid0(VALU_DEP_2) | instskip(NEXT) | instid1(VALU_DEP_2)
	v_fma_f64 v[6:7], v[216:217], s[0:1], v[6:7]
	v_add_f64_e32 v[28:29], v[22:23], v[18:19]
	s_delay_alu instid0(VALU_DEP_2)
	v_add_f64_e32 v[10:11], v[0:1], v[6:7]
	v_add_f64_e64 v[0:1], v[0:1], -v[6:7]
	v_add_f64_e32 v[6:7], v[40:41], v[160:161]
	ds_store_2addr_b64 v239, v[24:25], v[28:29] offset1:10
	ds_store_2addr_b64 v239, v[10:11], v[4:5] offset0:20 offset1:30
	v_add_f64_e64 v[4:5], v[22:23], -v[18:19]
	v_add_f64_e64 v[10:11], v[160:161], -v[8:9]
	v_add_f64_e32 v[6:7], v[6:7], v[8:9]
	ds_store_2addr_b64 v239, v[4:5], v[0:1] offset0:40 offset1:50
	v_add_f64_e32 v[4:5], v[160:161], v[8:9]
	v_mul_u32_u24_e32 v8, 0x1e0, v185
	v_lshlrev_b32_e32 v9, 3, v186
	v_add_f64_e32 v[0:1], v[126:127], v[136:137]
	s_delay_alu instid0(VALU_DEP_2) | instskip(SKIP_2) | instid1(VALU_DEP_4)
	v_add3_u32 v240, 0, v8, v9
	v_add_f64_e32 v[8:9], v[130:131], v[142:143]
	v_fma_f64 v[4:5], v[4:5], -0.5, v[40:41]
	v_fma_f64 v[0:1], v[0:1], -0.5, v[2:3]
	v_add_f64_e32 v[2:3], v[2:3], v[126:127]
	s_delay_alu instid0(VALU_DEP_4) | instskip(NEXT) | instid1(VALU_DEP_4)
	v_fma_f64 v[8:9], v[8:9], -0.5, v[124:125]
	v_fma_f64 v[218:219], v[12:13], s[2:3], v[4:5]
	v_fma_f64 v[185:186], v[12:13], s[0:1], v[4:5]
	;; [unrolled: 1-line block ×3, first 2 shown]
	v_add_f64_e32 v[2:3], v[2:3], v[136:137]
	v_fma_f64 v[0:1], v[16:17], s[2:3], v[0:1]
	v_fma_f64 v[160:161], v[10:11], s[2:3], v[8:9]
	;; [unrolled: 1-line block ×3, first 2 shown]
	v_mul_f64_e32 v[4:5], -0.5, v[218:219]
	v_add_f64_e32 v[20:21], v[2:3], v[6:7]
	v_add_f64_e64 v[2:3], v[2:3], -v[6:7]
	v_mul_f64_e32 v[14:15], s[0:1], v[160:161]
	s_delay_alu instid0(VALU_DEP_4) | instskip(NEXT) | instid1(VALU_DEP_2)
	v_fma_f64 v[4:5], v[220:221], s[0:1], v[4:5]
	v_fma_f64 v[14:15], v[185:186], 0.5, v[14:15]
	s_delay_alu instid0(VALU_DEP_2) | instskip(SKIP_2) | instid1(VALU_DEP_4)
	v_add_f64_e32 v[6:7], v[0:1], v[4:5]
	v_add_f64_e64 v[0:1], v[0:1], -v[4:5]
	v_add_f64_e32 v[4:5], v[30:31], v[36:37]
	v_add_f64_e32 v[22:23], v[18:19], v[14:15]
	ds_store_2addr_b64 v240, v[6:7], v[2:3] offset0:20 offset1:30
	v_add_f64_e64 v[2:3], v[18:19], -v[14:15]
	ds_store_2addr_b64 v240, v[20:21], v[22:23] offset1:10
	ds_store_2addr_b64 v240, v[2:3], v[0:1] offset0:40 offset1:50
	v_add_f64_e32 v[0:1], v[26:27], v[34:35]
	v_add_f64_e32 v[2:3], v[72:73], v[30:31]
	v_fma_f64 v[72:73], v[4:5], -0.5, v[72:73]
	global_wb scope:SCOPE_SE
	s_wait_dscnt 0x0
	s_barrier_signal -1
	s_barrier_wait -1
	global_inv scope:SCOPE_SE
	v_add_f64_e32 v[226:227], v[0:1], v[48:49]
	v_add_f64_e32 v[224:225], v[2:3], v[36:37]
	v_mul_f64_e32 v[0:1], s[2:3], v[64:65]
	v_fma_f64 v[230:231], v[222:223], s[2:3], v[72:73]
	v_fma_f64 v[72:73], v[222:223], s[0:1], v[72:73]
	s_delay_alu instid0(VALU_DEP_4) | instskip(NEXT) | instid1(VALU_DEP_4)
	v_add_f64_e64 v[191:192], v[224:225], -v[226:227]
	v_fma_f64 v[228:229], v[58:59], 0.5, v[0:1]
	ds_load_b64 v[78:79], v183
	ds_load_b64 v[76:77], v184
	ds_load_2addr_b64 v[4:7], v171 offset1:180
	ds_load_2addr_b64 v[64:67], v172 offset0:104 offset1:164
	ds_load_2addr_b64 v[60:63], v180 offset0:80 offset1:140
	;; [unrolled: 1-line block ×16, first 2 shown]
	v_add_f64_e32 v[222:223], v[72:73], v[187:188]
	global_wb scope:SCOPE_SE
	s_wait_dscnt 0x0
	s_barrier_signal -1
	s_barrier_wait -1
	global_inv scope:SCOPE_SE
	v_add_f64_e64 v[72:73], v[72:73], -v[187:188]
	v_add_f64_e32 v[232:233], v[224:225], v[226:227]
	v_add_f64_e32 v[234:235], v[230:231], v[228:229]
	ds_store_2addr_b64 v193, v[222:223], v[191:192] offset0:20 offset1:30
	v_add_f64_e64 v[191:192], v[230:231], -v[228:229]
	ds_store_2addr_b64 v193, v[232:233], v[234:235] offset1:10
	ds_store_2addr_b64 v193, v[191:192], v[72:73] offset0:40 offset1:50
	v_add_f64_e64 v[72:73], v[84:85], -v[96:97]
	v_add_f64_e32 v[84:85], v[158:159], v[82:83]
	v_add_f64_e32 v[82:83], v[82:83], v[92:93]
	s_delay_alu instid0(VALU_DEP_2) | instskip(NEXT) | instid1(VALU_DEP_2)
	v_add_f64_e32 v[84:85], v[84:85], v[92:93]
	v_fma_f64 v[82:83], v[82:83], -0.5, v[158:159]
	s_delay_alu instid0(VALU_DEP_2) | instskip(NEXT) | instid1(VALU_DEP_2)
	v_add_f64_e32 v[92:93], v[84:85], v[80:81]
	v_fma_f64 v[88:89], v[72:73], s[2:3], v[82:83]
	v_fma_f64 v[72:73], v[72:73], s[0:1], v[82:83]
	v_mul_f64_e32 v[82:83], -0.5, v[197:198]
	v_add_f64_e64 v[80:81], v[84:85], -v[80:81]
	s_delay_alu instid0(VALU_DEP_4) | instskip(NEXT) | instid1(VALU_DEP_3)
	v_add_f64_e32 v[96:97], v[88:89], v[86:87]
	v_fma_f64 v[82:83], v[195:196], s[2:3], v[82:83]
	ds_store_2addr_b64 v236, v[92:93], v[96:97] offset1:10
	v_add_f64_e32 v[84:85], v[72:73], v[82:83]
	v_add_f64_e64 v[72:73], v[72:73], -v[82:83]
	v_add_f64_e32 v[82:83], v[152:153], v[104:105]
	ds_store_2addr_b64 v236, v[84:85], v[80:81] offset0:20 offset1:30
	v_add_f64_e64 v[80:81], v[88:89], -v[86:87]
	v_add_f64_e32 v[84:85], v[104:105], v[114:115]
	v_add_f64_e32 v[82:83], v[82:83], v[114:115]
	v_mul_f64_e32 v[86:87], s[2:3], v[166:167]
	ds_store_2addr_b64 v236, v[80:81], v[72:73] offset0:40 offset1:50
	v_add_f64_e64 v[72:73], v[106:107], -v[116:117]
	v_fma_f64 v[84:85], v[84:85], -0.5, v[152:153]
	v_add_f64_e32 v[80:81], v[90:91], v[112:113]
	v_fma_f64 v[86:87], v[148:149], 0.5, v[86:87]
	s_delay_alu instid0(VALU_DEP_3) | instskip(SKIP_3) | instid1(VALU_DEP_4)
	v_fma_f64 v[88:89], v[72:73], s[2:3], v[84:85]
	v_fma_f64 v[72:73], v[72:73], s[0:1], v[84:85]
	v_mul_f64_e32 v[84:85], -0.5, v[202:203]
	v_add_f64_e32 v[80:81], v[80:81], v[120:121]
	v_add_f64_e32 v[92:93], v[88:89], v[86:87]
	s_delay_alu instid0(VALU_DEP_3) | instskip(NEXT) | instid1(VALU_DEP_3)
	v_fma_f64 v[84:85], v[199:200], s[2:3], v[84:85]
	v_add_f64_e32 v[90:91], v[82:83], v[80:81]
	v_add_f64_e64 v[80:81], v[82:83], -v[80:81]
	s_delay_alu instid0(VALU_DEP_3)
	v_add_f64_e32 v[82:83], v[72:73], v[84:85]
	v_add_f64_e64 v[72:73], v[72:73], -v[84:85]
	v_mul_f64_e32 v[84:85], s[2:3], v[204:205]
	ds_store_2addr_b64 v237, v[90:91], v[92:93] offset1:10
	ds_store_2addr_b64 v237, v[82:83], v[80:81] offset0:20 offset1:30
	v_add_f64_e64 v[80:81], v[88:89], -v[86:87]
	v_add_f64_e64 v[82:83], v[98:99], -v[108:109]
	v_fma_f64 v[84:85], v[164:165], 0.5, v[84:85]
	ds_store_2addr_b64 v237, v[80:81], v[72:73] offset0:40 offset1:50
	v_add_f64_e32 v[72:73], v[100:101], v[110:111]
	v_add_f64_e32 v[80:81], v[74:75], v[100:101]
	s_delay_alu instid0(VALU_DEP_2) | instskip(SKIP_1) | instid1(VALU_DEP_3)
	v_fma_f64 v[72:73], v[72:73], -0.5, v[74:75]
	v_add_f64_e32 v[74:75], v[94:95], v[102:103]
	v_add_f64_e32 v[80:81], v[80:81], v[110:111]
	s_delay_alu instid0(VALU_DEP_3) | instskip(SKIP_3) | instid1(VALU_DEP_4)
	v_fma_f64 v[86:87], v[82:83], s[2:3], v[72:73]
	v_fma_f64 v[72:73], v[82:83], s[0:1], v[72:73]
	v_mul_f64_e32 v[82:83], -0.5, v[208:209]
	v_add_f64_e32 v[74:75], v[74:75], v[118:119]
	v_add_f64_e32 v[90:91], v[86:87], v[84:85]
	s_delay_alu instid0(VALU_DEP_3) | instskip(NEXT) | instid1(VALU_DEP_3)
	v_fma_f64 v[82:83], v[206:207], s[2:3], v[82:83]
	v_add_f64_e32 v[88:89], v[80:81], v[74:75]
	v_add_f64_e64 v[74:75], v[80:81], -v[74:75]
	s_delay_alu instid0(VALU_DEP_3)
	v_add_f64_e32 v[80:81], v[72:73], v[82:83]
	v_add_f64_e64 v[72:73], v[72:73], -v[82:83]
	v_add_f64_e32 v[82:83], v[132:133], v[144:145]
	ds_store_2addr_b64 v238, v[88:89], v[90:91] offset1:10
	ds_store_2addr_b64 v238, v[80:81], v[74:75] offset0:20 offset1:30
	v_add_f64_e64 v[74:75], v[86:87], -v[84:85]
	v_add_f64_e32 v[80:81], v[68:69], v[132:133]
	v_fma_f64 v[68:69], v[82:83], -0.5, v[68:69]
	v_mul_f64_e32 v[84:85], s[2:3], v[212:213]
	ds_store_2addr_b64 v238, v[74:75], v[72:73] offset0:40 offset1:50
	v_add_f64_e64 v[72:73], v[134:135], -v[146:147]
	v_add_f64_e32 v[74:75], v[122:123], v[140:141]
	v_add_f64_e32 v[80:81], v[80:81], v[144:145]
	v_fma_f64 v[84:85], v[210:211], 0.5, v[84:85]
	s_delay_alu instid0(VALU_DEP_4) | instskip(SKIP_3) | instid1(VALU_DEP_4)
	v_fma_f64 v[82:83], v[72:73], s[2:3], v[68:69]
	v_fma_f64 v[68:69], v[72:73], s[0:1], v[68:69]
	v_mul_f64_e32 v[72:73], -0.5, v[216:217]
	v_add_f64_e32 v[74:75], v[74:75], v[150:151]
	v_add_f64_e32 v[88:89], v[82:83], v[84:85]
	s_delay_alu instid0(VALU_DEP_3) | instskip(NEXT) | instid1(VALU_DEP_3)
	v_fma_f64 v[72:73], v[214:215], s[2:3], v[72:73]
	v_add_f64_e32 v[86:87], v[80:81], v[74:75]
	v_add_f64_e64 v[74:75], v[80:81], -v[74:75]
	s_delay_alu instid0(VALU_DEP_3)
	v_add_f64_e32 v[80:81], v[68:69], v[72:73]
	v_add_f64_e64 v[68:69], v[68:69], -v[72:73]
	v_add_f64_e32 v[72:73], v[70:71], v[128:129]
	ds_store_2addr_b64 v239, v[86:87], v[88:89] offset1:10
	ds_store_2addr_b64 v239, v[80:81], v[74:75] offset0:20 offset1:30
	v_add_f64_e64 v[74:75], v[82:83], -v[84:85]
	v_add_f64_e32 v[72:73], v[72:73], v[138:139]
	v_mul_f64_e32 v[80:81], s[2:3], v[185:186]
	ds_store_2addr_b64 v239, v[74:75], v[68:69] offset0:40 offset1:50
	v_add_f64_e32 v[68:69], v[128:129], v[138:139]
	v_add_f64_e64 v[74:75], v[126:127], -v[136:137]
	v_fma_f64 v[80:81], v[160:161], 0.5, v[80:81]
	s_delay_alu instid0(VALU_DEP_3) | instskip(SKIP_1) | instid1(VALU_DEP_2)
	v_fma_f64 v[68:69], v[68:69], -0.5, v[70:71]
	v_add_f64_e32 v[70:71], v[124:125], v[130:131]
	v_fma_f64 v[82:83], v[74:75], s[2:3], v[68:69]
	v_fma_f64 v[68:69], v[74:75], s[0:1], v[68:69]
	v_mul_f64_e32 v[74:75], -0.5, v[220:221]
	s_delay_alu instid0(VALU_DEP_4) | instskip(NEXT) | instid1(VALU_DEP_4)
	v_add_f64_e32 v[70:71], v[70:71], v[142:143]
	v_add_f64_e32 v[86:87], v[82:83], v[80:81]
	s_delay_alu instid0(VALU_DEP_3) | instskip(NEXT) | instid1(VALU_DEP_3)
	v_fma_f64 v[74:75], v[218:219], s[2:3], v[74:75]
	v_add_f64_e32 v[84:85], v[72:73], v[70:71]
	v_add_f64_e64 v[70:71], v[72:73], -v[70:71]
	s_delay_alu instid0(VALU_DEP_3)
	v_add_f64_e32 v[72:73], v[68:69], v[74:75]
	v_add_f64_e64 v[68:69], v[68:69], -v[74:75]
	ds_store_2addr_b64 v240, v[84:85], v[86:87] offset1:10
	ds_store_2addr_b64 v240, v[72:73], v[70:71] offset0:20 offset1:30
	v_add_f64_e64 v[70:71], v[82:83], -v[80:81]
	ds_store_2addr_b64 v240, v[70:71], v[68:69] offset0:40 offset1:50
	v_mul_u32_u24_e32 v68, 5, v194
	global_wb scope:SCOPE_SE
	s_wait_dscnt 0x0
	s_barrier_signal -1
	s_barrier_wait -1
	global_inv scope:SCOPE_SE
	v_lshlrev_b32_e32 v185, 4, v68
	s_clause 0x1
	global_load_b128 v[70:73], v185, s[4:5] offset:800
	global_load_b128 v[84:87], v185, s[4:5] offset:816
	ds_load_2addr_b64 v[80:83], v172 offset0:104 offset1:164
	s_wait_loadcnt_dscnt 0x100
	v_mul_f64_e32 v[68:69], v[80:81], v[72:73]
	v_mul_f64_e32 v[74:75], v[82:83], v[72:73]
	s_delay_alu instid0(VALU_DEP_2) | instskip(NEXT) | instid1(VALU_DEP_2)
	v_fma_f64 v[68:69], v[64:65], v[70:71], -v[68:69]
	v_fma_f64 v[100:101], v[66:67], v[70:71], -v[74:75]
	v_mul_f64_e32 v[64:65], v[64:65], v[72:73]
	v_mul_f64_e32 v[66:67], v[66:67], v[72:73]
	s_delay_alu instid0(VALU_DEP_2) | instskip(NEXT) | instid1(VALU_DEP_2)
	v_fma_f64 v[80:81], v[80:81], v[70:71], v[64:65]
	v_fma_f64 v[88:89], v[82:83], v[70:71], v[66:67]
	ds_load_2addr_b64 v[70:73], v180 offset0:80 offset1:140
	s_wait_loadcnt_dscnt 0x0
	v_mul_f64_e32 v[64:65], v[70:71], v[86:87]
	v_mul_f64_e32 v[66:67], v[72:73], v[86:87]
	s_delay_alu instid0(VALU_DEP_2) | instskip(NEXT) | instid1(VALU_DEP_2)
	v_fma_f64 v[64:65], v[60:61], v[84:85], -v[64:65]
	v_fma_f64 v[90:91], v[62:63], v[84:85], -v[66:67]
	v_mul_f64_e32 v[60:61], v[60:61], v[86:87]
	v_mul_f64_e32 v[62:63], v[62:63], v[86:87]
	s_delay_alu instid0(VALU_DEP_2) | instskip(NEXT) | instid1(VALU_DEP_2)
	v_fma_f64 v[82:83], v[70:71], v[84:85], v[60:61]
	v_fma_f64 v[92:93], v[72:73], v[84:85], v[62:63]
	s_clause 0x1
	global_load_b128 v[70:73], v185, s[4:5] offset:832
	global_load_b128 v[102:105], v185, s[4:5] offset:848
	ds_load_2addr_b64 v[84:87], v179 offset0:56 offset1:116
	s_wait_loadcnt_dscnt 0x100
	v_mul_f64_e32 v[60:61], v[84:85], v[72:73]
	s_delay_alu instid0(VALU_DEP_1) | instskip(SKIP_2) | instid1(VALU_DEP_2)
	v_fma_f64 v[62:63], v[56:57], v[70:71], -v[60:61]
	v_mul_f64_e32 v[60:61], v[86:87], v[72:73]
	v_mul_f64_e32 v[56:57], v[56:57], v[72:73]
	v_fma_f64 v[60:61], v[58:59], v[70:71], -v[60:61]
	v_mul_f64_e32 v[58:59], v[58:59], v[72:73]
	s_delay_alu instid0(VALU_DEP_3) | instskip(NEXT) | instid1(VALU_DEP_2)
	v_fma_f64 v[84:85], v[84:85], v[70:71], v[56:57]
	v_fma_f64 v[94:95], v[86:87], v[70:71], v[58:59]
	ds_load_2addr_b64 v[70:73], v174 offset0:160 offset1:220
	s_wait_loadcnt_dscnt 0x0
	v_mul_f64_e32 v[56:57], v[70:71], v[104:105]
	v_mul_f64_e32 v[58:59], v[72:73], v[104:105]
	s_delay_alu instid0(VALU_DEP_2) | instskip(SKIP_1) | instid1(VALU_DEP_3)
	v_fma_f64 v[56:57], v[52:53], v[102:103], -v[56:57]
	v_mul_f64_e32 v[52:53], v[52:53], v[104:105]
	v_fma_f64 v[96:97], v[54:55], v[102:103], -v[58:59]
	v_mul_f64_e32 v[54:55], v[54:55], v[104:105]
	s_delay_alu instid0(VALU_DEP_3) | instskip(SKIP_1) | instid1(VALU_DEP_3)
	v_fma_f64 v[86:87], v[70:71], v[102:103], v[52:53]
	v_mul_lo_u16 v52, 0x89, v154
	v_fma_f64 v[98:99], v[72:73], v[102:103], v[54:55]
	s_delay_alu instid0(VALU_DEP_2) | instskip(NEXT) | instid1(VALU_DEP_1)
	v_lshrrev_b16 v52, 13, v52
	v_mul_lo_u16 v52, v52, 60
	s_delay_alu instid0(VALU_DEP_1) | instskip(NEXT) | instid1(VALU_DEP_1)
	v_sub_nc_u16 v52, v201, v52
	v_and_b32_e32 v54, 0xff, v52
	s_delay_alu instid0(VALU_DEP_1) | instskip(NEXT) | instid1(VALU_DEP_1)
	v_mul_u32_u24_e32 v52, 5, v54
	v_lshlrev_b32_e32 v55, 4, v52
	s_clause 0x1
	global_load_b128 v[70:73], v185, s[4:5] offset:864
	global_load_b128 v[104:107], v55, s[4:5] offset:800
	ds_load_2addr_b64 v[108:111], v177 offset0:8 offset1:68
	v_add_f64_e64 v[66:67], v[82:83], -v[86:87]
	s_wait_loadcnt_dscnt 0x100
	v_mul_f64_e32 v[52:53], v[108:109], v[72:73]
	s_delay_alu instid0(VALU_DEP_1) | instskip(SKIP_2) | instid1(VALU_DEP_2)
	v_fma_f64 v[58:59], v[48:49], v[70:71], -v[52:53]
	v_mul_f64_e32 v[52:53], v[110:111], v[72:73]
	v_mul_f64_e32 v[48:49], v[48:49], v[72:73]
	v_fma_f64 v[52:53], v[50:51], v[70:71], -v[52:53]
	v_mul_f64_e32 v[50:51], v[50:51], v[72:73]
	s_delay_alu instid0(VALU_DEP_3) | instskip(NEXT) | instid1(VALU_DEP_2)
	v_fma_f64 v[102:103], v[108:109], v[70:71], v[48:49]
	v_fma_f64 v[108:109], v[110:111], v[70:71], v[50:51]
	ds_load_2addr_b64 v[70:73], v173 offset0:96 offset1:156
	s_wait_loadcnt_dscnt 0x0
	v_mul_f64_e32 v[48:49], v[70:71], v[106:107]
	s_delay_alu instid0(VALU_DEP_1) | instskip(SKIP_1) | instid1(VALU_DEP_1)
	v_fma_f64 v[48:49], v[44:45], v[104:105], -v[48:49]
	v_mul_f64_e32 v[44:45], v[44:45], v[106:107]
	v_fma_f64 v[104:105], v[70:71], v[104:105], v[44:45]
	v_mul_lo_u16 v44, 0x89, v155
	s_delay_alu instid0(VALU_DEP_1) | instskip(NEXT) | instid1(VALU_DEP_1)
	v_lshrrev_b16 v44, 13, v44
	v_mul_lo_u16 v44, v44, 60
	s_delay_alu instid0(VALU_DEP_1) | instskip(NEXT) | instid1(VALU_DEP_1)
	v_sub_nc_u16 v44, v170, v44
	v_and_b32_e32 v50, 0xff, v44
	s_delay_alu instid0(VALU_DEP_1) | instskip(NEXT) | instid1(VALU_DEP_1)
	v_mul_u32_u24_e32 v44, 5, v50
	v_lshlrev_b32_e32 v51, 4, v44
	s_clause 0x1
	global_load_b128 v[110:113], v51, s[4:5] offset:800
	global_load_b128 v[118:121], v51, s[4:5] offset:816
	s_wait_loadcnt 0x1
	v_mul_f64_e32 v[44:45], v[72:73], v[112:113]
	s_delay_alu instid0(VALU_DEP_1) | instskip(SKIP_1) | instid1(VALU_DEP_1)
	v_fma_f64 v[44:45], v[46:47], v[110:111], -v[44:45]
	v_mul_f64_e32 v[46:47], v[46:47], v[112:113]
	v_fma_f64 v[106:107], v[72:73], v[110:111], v[46:47]
	s_clause 0x1
	global_load_b128 v[70:73], v55, s[4:5] offset:816
	global_load_b128 v[122:125], v55, s[4:5] offset:832
	ds_load_2addr_b64 v[126:129], v178 offset0:72 offset1:132
	s_wait_loadcnt_dscnt 0x100
	v_mul_f64_e32 v[46:47], v[126:127], v[72:73]
	s_delay_alu instid0(VALU_DEP_1) | instskip(SKIP_1) | instid1(VALU_DEP_1)
	v_fma_f64 v[116:117], v[40:41], v[70:71], -v[46:47]
	v_mul_f64_e32 v[40:41], v[40:41], v[72:73]
	v_fma_f64 v[114:115], v[126:127], v[70:71], v[40:41]
	v_mul_f64_e32 v[40:41], v[128:129], v[120:121]
	ds_load_2addr_b64 v[70:73], v179 offset0:176 offset1:236
	v_fma_f64 v[112:113], v[42:43], v[118:119], -v[40:41]
	v_mul_f64_e32 v[40:41], v[42:43], v[120:121]
	s_delay_alu instid0(VALU_DEP_1) | instskip(SKIP_2) | instid1(VALU_DEP_1)
	v_fma_f64 v[110:111], v[128:129], v[118:119], v[40:41]
	s_wait_loadcnt_dscnt 0x0
	v_mul_f64_e32 v[40:41], v[70:71], v[124:125]
	v_fma_f64 v[40:41], v[36:37], v[122:123], -v[40:41]
	v_mul_f64_e32 v[36:37], v[36:37], v[124:125]
	s_delay_alu instid0(VALU_DEP_1)
	v_fma_f64 v[118:119], v[70:71], v[122:123], v[36:37]
	s_clause 0x1
	global_load_b128 v[120:123], v51, s[4:5] offset:832
	global_load_b128 v[130:133], v51, s[4:5] offset:848
	s_wait_loadcnt 0x1
	v_mul_f64_e32 v[36:37], v[72:73], v[122:123]
	s_delay_alu instid0(VALU_DEP_1) | instskip(SKIP_1) | instid1(VALU_DEP_1)
	v_fma_f64 v[36:37], v[38:39], v[120:121], -v[36:37]
	v_mul_f64_e32 v[38:39], v[38:39], v[122:123]
	v_fma_f64 v[120:121], v[72:73], v[120:121], v[38:39]
	s_clause 0x1
	global_load_b128 v[70:73], v55, s[4:5] offset:848
	global_load_b128 v[134:137], v55, s[4:5] offset:864
	ds_load_2addr_b64 v[138:141], v176 offset0:24 offset1:84
	s_wait_loadcnt_dscnt 0x100
	v_mul_f64_e32 v[38:39], v[138:139], v[72:73]
	s_delay_alu instid0(VALU_DEP_1) | instskip(SKIP_1) | instid1(VALU_DEP_1)
	v_fma_f64 v[128:129], v[32:33], v[70:71], -v[38:39]
	v_mul_f64_e32 v[32:33], v[32:33], v[72:73]
	v_fma_f64 v[126:127], v[138:139], v[70:71], v[32:33]
	v_mul_f64_e32 v[32:33], v[140:141], v[132:133]
	s_delay_alu instid0(VALU_DEP_1) | instskip(SKIP_1) | instid1(VALU_DEP_1)
	v_fma_f64 v[124:125], v[34:35], v[130:131], -v[32:33]
	v_mul_f64_e32 v[32:33], v[34:35], v[132:133]
	v_fma_f64 v[122:123], v[140:141], v[130:131], v[32:33]
	ds_load_2addr_b64 v[32:35], v177 offset0:128 offset1:188
	s_wait_loadcnt_dscnt 0x0
	v_mul_f64_e32 v[38:39], v[32:33], v[136:137]
	s_delay_alu instid0(VALU_DEP_1) | instskip(SKIP_1) | instid1(VALU_DEP_1)
	v_fma_f64 v[38:39], v[28:29], v[134:135], -v[38:39]
	v_mul_f64_e32 v[28:29], v[28:29], v[136:137]
	v_fma_f64 v[130:131], v[32:33], v[134:135], v[28:29]
	v_mul_u32_u24_e32 v28, 0x8889, v156
	s_delay_alu instid0(VALU_DEP_1) | instskip(NEXT) | instid1(VALU_DEP_1)
	v_lshrrev_b32_e32 v28, 21, v28
	v_mul_lo_u16 v28, v28, 60
	s_delay_alu instid0(VALU_DEP_1) | instskip(NEXT) | instid1(VALU_DEP_1)
	v_sub_nc_u16 v28, v169, v28
	v_and_b32_e32 v32, 0xffff, v28
	s_delay_alu instid0(VALU_DEP_1) | instskip(NEXT) | instid1(VALU_DEP_1)
	v_mul_u32_u24_e32 v28, 5, v32
	v_lshlrev_b32_e32 v46, 4, v28
	s_clause 0x1
	global_load_b128 v[70:73], v51, s[4:5] offset:864
	global_load_b128 v[136:139], v46, s[4:5] offset:800
	s_wait_loadcnt 0x1
	v_mul_f64_e32 v[28:29], v[34:35], v[72:73]
	s_delay_alu instid0(VALU_DEP_1) | instskip(SKIP_1) | instid1(VALU_DEP_1)
	v_fma_f64 v[42:43], v[30:31], v[70:71], -v[28:29]
	v_mul_f64_e32 v[28:29], v[30:31], v[72:73]
	v_fma_f64 v[134:135], v[34:35], v[70:71], v[28:29]
	ds_load_2addr_b64 v[70:73], v175 offset0:88 offset1:148
	s_wait_loadcnt_dscnt 0x0
	v_mul_f64_e32 v[28:29], v[70:71], v[138:139]
	s_delay_alu instid0(VALU_DEP_1) | instskip(SKIP_1) | instid1(VALU_DEP_1)
	v_fma_f64 v[28:29], v[24:25], v[136:137], -v[28:29]
	v_mul_f64_e32 v[24:25], v[24:25], v[138:139]
	v_fma_f64 v[132:133], v[70:71], v[136:137], v[24:25]
	v_mul_u32_u24_e32 v24, 0x8889, v157
	s_delay_alu instid0(VALU_DEP_1) | instskip(NEXT) | instid1(VALU_DEP_1)
	v_lshrrev_b32_e32 v24, 21, v24
	v_mul_lo_u16 v24, v24, 60
	s_delay_alu instid0(VALU_DEP_1) | instskip(NEXT) | instid1(VALU_DEP_1)
	v_sub_nc_u16 v24, v168, v24
	v_and_b32_e32 v30, 0xffff, v24
	s_delay_alu instid0(VALU_DEP_1) | instskip(SKIP_1) | instid1(VALU_DEP_2)
	v_mul_u32_u24_e32 v24, 5, v30
	v_lshl_add_u32 v30, v30, 3, 0
	v_lshlrev_b32_e32 v31, 4, v24
	s_clause 0x1
	global_load_b128 v[136:139], v31, s[4:5] offset:800
	global_load_b128 v[140:143], v31, s[4:5] offset:816
	v_add_nc_u32_e32 v238, 0x3800, v30
	v_add_nc_u32_e32 v239, 0x3c00, v30
	s_wait_loadcnt 0x1
	v_mul_f64_e32 v[24:25], v[72:73], v[138:139]
	s_delay_alu instid0(VALU_DEP_1) | instskip(SKIP_1) | instid1(VALU_DEP_1)
	v_fma_f64 v[24:25], v[26:27], v[136:137], -v[24:25]
	v_mul_f64_e32 v[26:27], v[26:27], v[138:139]
	v_fma_f64 v[136:137], v[72:73], v[136:137], v[26:27]
	s_clause 0x1
	global_load_b128 v[70:73], v46, s[4:5] offset:816
	global_load_b128 v[150:153], v46, s[4:5] offset:832
	ds_load_2addr_b64 v[154:157], v178 offset0:192 offset1:252
	s_wait_loadcnt_dscnt 0x100
	v_mul_f64_e32 v[26:27], v[154:155], v[72:73]
	s_delay_alu instid0(VALU_DEP_1) | instskip(SKIP_1) | instid1(VALU_DEP_1)
	v_fma_f64 v[148:149], v[20:21], v[70:71], -v[26:27]
	v_mul_f64_e32 v[20:21], v[20:21], v[72:73]
	v_fma_f64 v[146:147], v[154:155], v[70:71], v[20:21]
	v_mul_f64_e32 v[20:21], v[156:157], v[142:143]
	s_delay_alu instid0(VALU_DEP_1) | instskip(SKIP_1) | instid1(VALU_DEP_1)
	v_fma_f64 v[138:139], v[22:23], v[140:141], -v[20:21]
	v_mul_f64_e32 v[20:21], v[22:23], v[142:143]
	v_fma_f64 v[144:145], v[156:157], v[140:141], v[20:21]
	ds_load_2addr_b64 v[20:23], v174 offset0:40 offset1:100
	s_clause 0x1
	global_load_b128 v[70:73], v31, s[4:5] offset:832
	global_load_b128 v[140:143], v31, s[4:5] offset:848
	s_wait_loadcnt_dscnt 0x200
	v_mul_f64_e32 v[26:27], v[20:21], v[152:153]
	s_delay_alu instid0(VALU_DEP_1) | instskip(SKIP_1) | instid1(VALU_DEP_1)
	v_fma_f64 v[26:27], v[16:17], v[150:151], -v[26:27]
	v_mul_f64_e32 v[16:17], v[16:17], v[152:153]
	v_fma_f64 v[152:153], v[20:21], v[150:151], v[16:17]
	s_wait_loadcnt 0x1
	v_mul_f64_e32 v[16:17], v[22:23], v[72:73]
	s_delay_alu instid0(VALU_DEP_1) | instskip(SKIP_1) | instid1(VALU_DEP_1)
	v_fma_f64 v[33:34], v[18:19], v[70:71], -v[16:17]
	v_mul_f64_e32 v[16:17], v[18:19], v[72:73]
	v_fma_f64 v[150:151], v[22:23], v[70:71], v[16:17]
	s_clause 0x1
	global_load_b128 v[16:19], v46, s[4:5] offset:848
	global_load_b128 v[20:23], v46, s[4:5] offset:864
	ds_load_2addr_b64 v[70:73], v176 offset0:144 offset1:204
	s_wait_loadcnt_dscnt 0x100
	v_mul_f64_e32 v[46:47], v[70:71], v[18:19]
	s_delay_alu instid0(VALU_DEP_1) | instskip(SKIP_1) | instid1(VALU_DEP_1)
	v_fma_f64 v[164:165], v[12:13], v[16:17], -v[46:47]
	v_mul_f64_e32 v[12:13], v[12:13], v[18:19]
	v_fma_f64 v[162:163], v[70:71], v[16:17], v[12:13]
	v_mul_f64_e32 v[12:13], v[72:73], v[142:143]
	s_delay_alu instid0(VALU_DEP_1) | instskip(SKIP_1) | instid1(VALU_DEP_1)
	v_fma_f64 v[154:155], v[14:15], v[140:141], -v[12:13]
	v_mul_f64_e32 v[12:13], v[14:15], v[142:143]
	v_fma_f64 v[156:157], v[72:73], v[140:141], v[12:13]
	ds_load_2addr_b64 v[12:15], v182 offset0:120 offset1:180
	s_wait_loadcnt_dscnt 0x0
	v_mul_f64_e32 v[16:17], v[12:13], v[22:23]
	s_delay_alu instid0(VALU_DEP_1) | instskip(SKIP_3) | instid1(VALU_DEP_1)
	v_fma_f64 v[46:47], v[8:9], v[20:21], -v[16:17]
	global_load_b128 v[16:19], v31, s[4:5] offset:864
	v_mul_f64_e32 v[8:9], v[8:9], v[22:23]
	v_lshl_add_u32 v31, v54, 3, 0
	v_add_nc_u32_e32 v233, 0x1800, v31
	v_add_nc_u32_e32 v232, 0x1400, v31
	v_lshl_add_u32 v31, v50, 3, 0
	s_delay_alu instid0(VALU_DEP_1) | instskip(SKIP_4) | instid1(VALU_DEP_2)
	v_add_nc_u32_e32 v234, 0x2000, v31
	v_add_nc_u32_e32 v235, 0x2800, v31
	v_fma_f64 v[166:167], v[12:13], v[20:21], v[8:9]
	v_add_f64_e32 v[12:13], v[62:63], v[58:59]
	v_add_f64_e32 v[20:21], v[64:65], v[56:57]
	v_fma_f64 v[12:13], v[12:13], -0.5, v[68:69]
	s_wait_loadcnt 0x0
	v_mul_f64_e32 v[8:9], v[14:15], v[18:19]
	s_delay_alu instid0(VALU_DEP_1) | instskip(SKIP_2) | instid1(VALU_DEP_2)
	v_fma_f64 v[8:9], v[10:11], v[16:17], -v[8:9]
	v_mul_f64_e32 v[10:11], v[10:11], v[18:19]
	v_add_f64_e32 v[18:19], v[84:85], v[102:103]
	v_fma_f64 v[158:159], v[14:15], v[16:17], v[10:11]
	v_add_f64_e32 v[10:11], v[68:69], v[62:63]
	v_add_f64_e32 v[16:17], v[4:5], v[64:65]
	v_fma_f64 v[4:5], v[20:21], -0.5, v[4:5]
	v_add_f64_e64 v[20:21], v[84:85], -v[102:103]
	v_add_f64_e64 v[14:15], v[62:63], -v[58:59]
	v_fma_f64 v[18:19], v[18:19], -0.5, v[80:81]
	ds_load_b64 v[160:161], v183
	ds_load_b64 v[186:187], v184
	ds_load_2addr_b64 v[68:71], v171 offset1:180
	ds_load_2addr_b64 v[72:75], v181 offset0:112 offset1:172
	global_wb scope:SCOPE_SE
	s_wait_dscnt 0x0
	s_barrier_signal -1
	s_barrier_wait -1
	global_inv scope:SCOPE_SE
	v_add_f64_e32 v[10:11], v[10:11], v[58:59]
	v_add_f64_e32 v[16:17], v[16:17], v[56:57]
	v_fma_f64 v[140:141], v[66:67], s[0:1], v[4:5]
	v_fma_f64 v[58:59], v[20:21], s[0:1], v[12:13]
	;; [unrolled: 1-line block ×6, first 2 shown]
	v_add_f64_e32 v[20:21], v[78:79], v[90:91]
	v_add_f64_e64 v[66:67], v[92:93], -v[98:99]
	v_add_f64_e32 v[142:143], v[16:17], v[10:11]
	v_add_f64_e64 v[10:11], v[16:17], -v[10:11]
	v_mul_f64_e32 v[16:17], -0.5, v[12:13]
	v_mul_f64_e32 v[62:63], s[0:1], v[22:23]
	v_add_f64_e32 v[20:21], v[20:21], v[96:97]
	s_delay_alu instid0(VALU_DEP_3) | instskip(NEXT) | instid1(VALU_DEP_3)
	v_fma_f64 v[16:17], v[14:15], s[0:1], v[16:17]
	v_fma_f64 v[62:63], v[58:59], 0.5, v[62:63]
	s_delay_alu instid0(VALU_DEP_2) | instskip(SKIP_2) | instid1(VALU_DEP_4)
	v_add_f64_e32 v[18:19], v[4:5], v[16:17]
	v_add_f64_e64 v[4:5], v[4:5], -v[16:17]
	v_add_f64_e64 v[16:17], v[60:61], -v[52:53]
	v_add_f64_e32 v[188:189], v[140:141], v[62:63]
	ds_store_2addr_b64 v171, v[18:19], v[10:11] offset0:120 offset1:180
	v_add_f64_e64 v[10:11], v[140:141], -v[62:63]
	v_add_f64_e32 v[18:19], v[90:91], v[96:97]
	ds_store_2addr_b64 v171, v[142:143], v[188:189] offset1:60
	v_add_f64_e64 v[90:91], v[90:91], -v[96:97]
	ds_store_2addr_b64 v181, v[10:11], v[4:5] offset0:112 offset1:172
	v_add_f64_e32 v[4:5], v[100:101], v[60:61]
	v_add_f64_e32 v[10:11], v[60:61], v[52:53]
	v_fma_f64 v[18:19], v[18:19], -0.5, v[78:79]
	v_add_f64_e64 v[60:61], v[94:95], -v[108:109]
	s_delay_alu instid0(VALU_DEP_4) | instskip(SKIP_3) | instid1(VALU_DEP_4)
	v_add_f64_e32 v[4:5], v[4:5], v[52:53]
	v_add_f64_e32 v[51:52], v[94:95], v[108:109]
	v_fma_f64 v[10:11], v[10:11], -0.5, v[100:101]
	v_fma_f64 v[140:141], v[66:67], s[0:1], v[18:19]
	v_add_f64_e32 v[142:143], v[20:21], v[4:5]
	s_delay_alu instid0(VALU_DEP_4) | instskip(NEXT) | instid1(VALU_DEP_4)
	v_fma_f64 v[51:52], v[51:52], -0.5, v[88:89]
	v_fma_f64 v[100:101], v[60:61], s[0:1], v[10:11]
	v_add_f64_e64 v[4:5], v[20:21], -v[4:5]
	v_add_f64_e32 v[20:21], v[76:77], v[116:117]
	v_add_f64_e32 v[88:89], v[88:89], v[94:95]
	;; [unrolled: 1-line block ×4, first 2 shown]
	v_fma_f64 v[78:79], v[16:17], s[2:3], v[51:52]
	v_fma_f64 v[190:191], v[16:17], s[0:1], v[51:52]
	v_add_f64_e64 v[51:52], v[114:115], -v[126:127]
	v_add_f64_e32 v[20:21], v[20:21], v[128:129]
	v_mul_f64_e32 v[96:97], s[2:3], v[100:101]
	v_add_f64_e32 v[94:95], v[94:95], v[98:99]
	v_fma_f64 v[92:93], v[92:93], -0.5, v[160:161]
	v_add_f64_e32 v[88:89], v[88:89], v[108:109]
	v_mul_f64_e32 v[62:63], s[0:1], v[78:79]
	v_fma_f64 v[78:79], v[78:79], 0.5, v[96:97]
	s_delay_alu instid0(VALU_DEP_4)
	v_fma_f64 v[96:97], v[90:91], s[2:3], v[92:93]
	v_fma_f64 v[90:91], v[90:91], s[0:1], v[92:93]
	v_mul_f64_e32 v[92:93], -0.5, v[190:191]
	v_add_f64_e32 v[98:99], v[94:95], v[88:89]
	v_add_f64_e64 v[88:89], v[94:95], -v[88:89]
	v_fma_f64 v[62:63], v[100:101], 0.5, v[62:63]
	v_add_f64_e32 v[100:101], v[96:97], v[78:79]
	v_add_f64_e64 v[78:79], v[96:97], -v[78:79]
	s_delay_alu instid0(VALU_DEP_3) | instskip(SKIP_3) | instid1(VALU_DEP_2)
	v_add_f64_e32 v[188:189], v[140:141], v[62:63]
	ds_store_2addr_b64 v172, v[142:143], v[188:189] offset0:104 offset1:164
	v_fma_f64 v[188:189], v[60:61], s[2:3], v[10:11]
	v_fma_f64 v[10:11], v[66:67], s[2:3], v[18:19]
	v_mul_f64_e32 v[16:17], -0.5, v[188:189]
	v_fma_f64 v[92:93], v[188:189], s[2:3], v[92:93]
	s_delay_alu instid0(VALU_DEP_2) | instskip(NEXT) | instid1(VALU_DEP_2)
	v_fma_f64 v[16:17], v[190:191], s[0:1], v[16:17]
	v_add_f64_e32 v[94:95], v[90:91], v[92:93]
	s_delay_alu instid0(VALU_DEP_2)
	v_add_f64_e32 v[18:19], v[10:11], v[16:17]
	v_add_f64_e64 v[10:11], v[10:11], -v[16:17]
	v_add_f64_e64 v[16:17], v[40:41], -v[38:39]
	ds_store_2addr_b64 v173, v[18:19], v[4:5] offset0:96 offset1:156
	v_add_f64_e64 v[4:5], v[140:141], -v[62:63]
	v_add_f64_e32 v[18:19], v[116:117], v[128:129]
	ds_store_2addr_b64 v175, v[4:5], v[10:11] offset0:88 offset1:148
	v_add_f64_e32 v[4:5], v[48:49], v[40:41]
	v_add_f64_e32 v[10:11], v[40:41], v[38:39]
	v_add_f64_e64 v[40:41], v[118:119], -v[130:131]
	v_fma_f64 v[18:19], v[18:19], -0.5, v[76:77]
	s_delay_alu instid0(VALU_DEP_4) | instskip(NEXT) | instid1(VALU_DEP_4)
	v_add_f64_e32 v[4:5], v[4:5], v[38:39]
	v_fma_f64 v[10:11], v[10:11], -0.5, v[48:49]
	v_add_f64_e32 v[38:39], v[118:119], v[130:131]
	s_delay_alu instid0(VALU_DEP_4) | instskip(NEXT) | instid1(VALU_DEP_4)
	v_fma_f64 v[53:54], v[51:52], s[0:1], v[18:19]
	v_add_f64_e32 v[60:61], v[20:21], v[4:5]
	s_delay_alu instid0(VALU_DEP_4) | instskip(NEXT) | instid1(VALU_DEP_4)
	v_fma_f64 v[195:196], v[40:41], s[2:3], v[10:11]
	v_fma_f64 v[38:39], v[38:39], -0.5, v[104:105]
	v_fma_f64 v[192:193], v[40:41], s[0:1], v[10:11]
	v_fma_f64 v[10:11], v[51:52], s[2:3], v[18:19]
	v_add_f64_e64 v[4:5], v[20:21], -v[4:5]
	v_add_f64_e32 v[20:21], v[120:121], v[134:135]
	v_fma_f64 v[76:77], v[16:17], s[2:3], v[38:39]
	v_fma_f64 v[197:198], v[16:17], s[0:1], v[38:39]
	v_mul_f64_e32 v[16:17], -0.5, v[195:196]
	v_add_f64_e64 v[39:40], v[110:111], -v[122:123]
	v_fma_f64 v[20:21], v[20:21], -0.5, v[106:107]
	v_mul_f64_e32 v[48:49], s[0:1], v[76:77]
	s_delay_alu instid0(VALU_DEP_4) | instskip(NEXT) | instid1(VALU_DEP_2)
	v_fma_f64 v[16:17], v[197:198], s[0:1], v[16:17]
	v_fma_f64 v[48:49], v[192:193], 0.5, v[48:49]
	s_delay_alu instid0(VALU_DEP_2) | instskip(SKIP_2) | instid1(VALU_DEP_4)
	v_add_f64_e32 v[18:19], v[10:11], v[16:17]
	v_add_f64_e64 v[10:11], v[10:11], -v[16:17]
	v_add_f64_e32 v[16:17], v[36:37], v[42:43]
	v_add_f64_e32 v[62:63], v[53:54], v[48:49]
	ds_store_2addr_b64 v233, v[18:19], v[4:5] offset0:72 offset1:132
	v_add_f64_e64 v[4:5], v[53:54], -v[48:49]
	v_add_f64_e64 v[18:19], v[36:37], -v[42:43]
	v_fma_f64 v[16:17], v[16:17], -0.5, v[44:45]
	ds_store_2addr_b64 v232, v[60:61], v[62:63] offset0:80 offset1:140
	ds_store_2addr_b64 v233, v[4:5], v[10:11] offset0:192 offset1:252
	v_add_f64_e32 v[4:5], v[112:113], v[124:125]
	v_add_f64_e32 v[10:11], v[44:45], v[36:37]
	v_add_f64_e64 v[35:36], v[120:121], -v[134:135]
	v_fma_f64 v[199:200], v[18:19], s[2:3], v[20:21]
	v_fma_f64 v[206:207], v[18:19], s[0:1], v[20:21]
	v_add_f64_e32 v[20:21], v[148:149], v[164:165]
	v_add_f64_e32 v[18:19], v[152:153], v[166:167]
	v_fma_f64 v[4:5], v[4:5], -0.5, v[6:7]
	v_add_f64_e32 v[6:7], v[6:7], v[112:113]
	v_add_f64_e32 v[10:11], v[10:11], v[42:43]
	v_fma_f64 v[204:205], v[35:36], s[2:3], v[16:17]
	v_fma_f64 v[202:203], v[35:36], s[0:1], v[16:17]
	v_mul_f64_e32 v[37:38], s[0:1], v[199:200]
	v_fma_f64 v[18:19], v[18:19], -0.5, v[132:133]
	v_fma_f64 v[41:42], v[39:40], s[0:1], v[4:5]
	v_add_f64_e32 v[6:7], v[6:7], v[124:125]
	v_fma_f64 v[4:5], v[39:40], s[2:3], v[4:5]
	v_lshl_add_u32 v39, v32, 3, 0
	v_fma_f64 v[37:38], v[202:203], 0.5, v[37:38]
	s_delay_alu instid0(VALU_DEP_2)
	v_add_nc_u32_e32 v237, 0x3000, v39
	v_add_nc_u32_e32 v236, 0x2800, v39
	v_add_f64_e32 v[43:44], v[6:7], v[10:11]
	v_add_f64_e64 v[6:7], v[6:7], -v[10:11]
	v_mul_f64_e32 v[10:11], -0.5, v[204:205]
	v_add_f64_e32 v[48:49], v[41:42], v[37:38]
	s_delay_alu instid0(VALU_DEP_2)
	v_fma_f64 v[10:11], v[206:207], s[0:1], v[10:11]
	ds_store_2addr_b64 v234, v[43:44], v[48:49] offset0:56 offset1:116
	v_add_f64_e32 v[16:17], v[4:5], v[10:11]
	v_add_f64_e64 v[4:5], v[4:5], -v[10:11]
	v_add_f64_e64 v[10:11], v[26:27], -v[46:47]
	ds_store_2addr_b64 v234, v[16:17], v[6:7] offset0:176 offset1:236
	v_add_f64_e64 v[6:7], v[41:42], -v[37:38]
	v_add_f64_e32 v[16:17], v[0:1], v[148:149]
	v_fma_f64 v[0:1], v[20:21], -0.5, v[0:1]
	v_add_f64_e64 v[20:21], v[152:153], -v[166:167]
	v_fma_f64 v[208:209], v[10:11], s[2:3], v[18:19]
	v_fma_f64 v[214:215], v[10:11], s[0:1], v[18:19]
	ds_store_2addr_b64 v235, v[6:7], v[4:5] offset0:40 offset1:100
	v_add_f64_e32 v[4:5], v[26:27], v[46:47]
	v_add_f64_e32 v[6:7], v[28:29], v[26:27]
	;; [unrolled: 1-line block ×3, first 2 shown]
	v_mul_f64_e32 v[26:27], s[0:1], v[208:209]
	s_delay_alu instid0(VALU_DEP_4) | instskip(NEXT) | instid1(VALU_DEP_4)
	v_fma_f64 v[4:5], v[4:5], -0.5, v[28:29]
	v_add_f64_e32 v[6:7], v[6:7], v[46:47]
	v_add_f64_e64 v[28:29], v[146:147], -v[162:163]
	s_delay_alu instid0(VALU_DEP_3) | instskip(SKIP_1) | instid1(VALU_DEP_4)
	v_fma_f64 v[212:213], v[20:21], s[2:3], v[4:5]
	v_fma_f64 v[210:211], v[20:21], s[0:1], v[4:5]
	v_add_f64_e32 v[35:36], v[16:17], v[6:7]
	v_add_f64_e64 v[4:5], v[16:17], -v[6:7]
	v_fma_f64 v[31:32], v[28:29], s[0:1], v[0:1]
	v_fma_f64 v[0:1], v[28:29], s[2:3], v[0:1]
	v_add_f64_e64 v[16:17], v[150:151], -v[158:159]
	v_add_f64_e64 v[20:21], v[144:145], -v[156:157]
	v_mul_f64_e32 v[6:7], -0.5, v[212:213]
	v_fma_f64 v[26:27], v[210:211], 0.5, v[26:27]
	s_delay_alu instid0(VALU_DEP_2) | instskip(NEXT) | instid1(VALU_DEP_2)
	v_fma_f64 v[6:7], v[214:215], s[0:1], v[6:7]
	v_add_f64_e32 v[37:38], v[31:32], v[26:27]
	s_delay_alu instid0(VALU_DEP_2)
	v_add_f64_e32 v[10:11], v[0:1], v[6:7]
	v_add_f64_e64 v[0:1], v[0:1], -v[6:7]
	v_add_f64_e32 v[6:7], v[24:25], v[33:34]
	ds_store_2addr_b64 v236, v[35:36], v[37:38] offset0:160 offset1:220
	ds_store_2addr_b64 v237, v[10:11], v[4:5] offset0:24 offset1:84
	v_add_f64_e64 v[4:5], v[31:32], -v[26:27]
	v_add_f64_e64 v[10:11], v[33:34], -v[8:9]
	v_add_f64_e32 v[6:7], v[6:7], v[8:9]
	ds_store_2addr_b64 v237, v[4:5], v[0:1] offset0:144 offset1:204
	v_add_f64_e32 v[4:5], v[33:34], v[8:9]
	v_add_f64_e32 v[8:9], v[150:151], v[158:159]
	;; [unrolled: 1-line block ×3, first 2 shown]
	s_delay_alu instid0(VALU_DEP_3) | instskip(NEXT) | instid1(VALU_DEP_3)
	v_fma_f64 v[4:5], v[4:5], -0.5, v[24:25]
	v_fma_f64 v[8:9], v[8:9], -0.5, v[136:137]
	s_delay_alu instid0(VALU_DEP_3) | instskip(SKIP_1) | instid1(VALU_DEP_4)
	v_fma_f64 v[0:1], v[0:1], -0.5, v[2:3]
	v_add_f64_e32 v[2:3], v[2:3], v[138:139]
	v_fma_f64 v[220:221], v[16:17], s[2:3], v[4:5]
	s_delay_alu instid0(VALU_DEP_4)
	v_fma_f64 v[216:217], v[10:11], s[2:3], v[8:9]
	v_fma_f64 v[218:219], v[16:17], s[0:1], v[4:5]
	;; [unrolled: 1-line block ×3, first 2 shown]
	v_add_f64_e32 v[2:3], v[2:3], v[154:155]
	v_fma_f64 v[24:25], v[20:21], s[0:1], v[0:1]
	v_fma_f64 v[0:1], v[20:21], s[2:3], v[0:1]
	v_mul_f64_e32 v[4:5], -0.5, v[220:221]
	v_mul_f64_e32 v[18:19], s[0:1], v[216:217]
	v_add_f64_e32 v[26:27], v[2:3], v[6:7]
	v_add_f64_e64 v[2:3], v[2:3], -v[6:7]
	s_delay_alu instid0(VALU_DEP_4) | instskip(NEXT) | instid1(VALU_DEP_4)
	v_fma_f64 v[4:5], v[222:223], s[0:1], v[4:5]
	v_fma_f64 v[18:19], v[218:219], 0.5, v[18:19]
	s_delay_alu instid0(VALU_DEP_2) | instskip(SKIP_1) | instid1(VALU_DEP_3)
	v_add_f64_e32 v[6:7], v[0:1], v[4:5]
	v_add_f64_e64 v[0:1], v[0:1], -v[4:5]
	v_add_f64_e32 v[28:29], v[24:25], v[18:19]
	ds_store_2addr_b64 v238, v[6:7], v[2:3] offset0:128 offset1:188
	v_add_f64_e64 v[2:3], v[24:25], -v[18:19]
	ds_store_2addr_b64 v238, v[26:27], v[28:29] offset0:8 offset1:68
	ds_store_2addr_b64 v239, v[2:3], v[0:1] offset0:120 offset1:180
	v_add_f64_e32 v[2:3], v[82:83], v[86:87]
	v_add_f64_e64 v[0:1], v[64:65], -v[56:57]
	global_wb scope:SCOPE_SE
	s_wait_dscnt 0x0
	s_barrier_signal -1
	s_barrier_wait -1
	global_inv scope:SCOPE_SE
	v_fma_f64 v[2:3], v[2:3], -0.5, v[68:69]
	v_add_f64_e32 v[68:69], v[68:69], v[82:83]
	s_delay_alu instid0(VALU_DEP_2) | instskip(SKIP_2) | instid1(VALU_DEP_4)
	v_fma_f64 v[224:225], v[0:1], s[2:3], v[2:3]
	v_fma_f64 v[226:227], v[0:1], s[0:1], v[2:3]
	v_mul_f64_e32 v[0:1], s[2:3], v[58:59]
	v_add_f64_e32 v[68:69], v[68:69], v[86:87]
	s_delay_alu instid0(VALU_DEP_2) | instskip(SKIP_1) | instid1(VALU_DEP_1)
	v_fma_f64 v[228:229], v[22:23], 0.5, v[0:1]
	v_mul_f64_e32 v[0:1], -0.5, v[14:15]
	v_fma_f64 v[230:231], v[12:13], s[2:3], v[0:1]
	ds_load_b64 v[140:141], v183
	ds_load_b64 v[142:143], v184
	ds_load_2addr_b64 v[16:19], v180 offset0:80 offset1:140
	ds_load_2addr_b64 v[8:11], v179 offset0:56 offset1:116
	;; [unrolled: 1-line block ×12, first 2 shown]
	ds_load_2addr_b64 v[0:3], v171 offset1:180
	ds_load_2addr_b64 v[24:27], v172 offset0:104 offset1:164
	ds_load_2addr_b64 v[36:39], v173 offset0:96 offset1:156
	;; [unrolled: 1-line block ×4, first 2 shown]
	global_wb scope:SCOPE_SE
	s_wait_dscnt 0x0
	s_barrier_signal -1
	s_barrier_wait -1
	global_inv scope:SCOPE_SE
	ds_store_2addr_b64 v173, v[94:95], v[88:89] offset0:96 offset1:156
	v_add_f64_e64 v[88:89], v[90:91], -v[92:93]
	v_add_f64_e32 v[92:93], v[114:115], v[126:127]
	v_mul_f64_e32 v[94:95], s[2:3], v[192:193]
	v_add_f64_e32 v[90:91], v[186:187], v[114:115]
	ds_store_2addr_b64 v172, v[98:99], v[100:101] offset0:104 offset1:164
	v_add_f64_e64 v[176:177], v[224:225], -v[228:229]
	v_add_f64_e64 v[178:179], v[226:227], -v[230:231]
	ds_store_2addr_b64 v175, v[78:79], v[88:89] offset0:88 offset1:148
	v_add_f64_e64 v[78:79], v[116:117], -v[128:129]
	v_fma_f64 v[92:93], v[92:93], -0.5, v[186:187]
	v_add_f64_e32 v[88:89], v[104:105], v[118:119]
	v_fma_f64 v[76:77], v[76:77], 0.5, v[94:95]
	v_add_f64_e32 v[90:91], v[90:91], v[126:127]
	ds_store_2addr_b64 v181, v[176:177], v[178:179] offset0:112 offset1:172
	v_fma_f64 v[94:95], v[78:79], s[2:3], v[92:93]
	v_fma_f64 v[78:79], v[78:79], s[0:1], v[92:93]
	v_mul_f64_e32 v[92:93], -0.5, v[197:198]
	v_add_f64_e32 v[88:89], v[88:89], v[130:131]
	s_delay_alu instid0(VALU_DEP_4) | instskip(SKIP_1) | instid1(VALU_DEP_4)
	v_add_f64_e32 v[98:99], v[94:95], v[76:77]
	v_add_f64_e64 v[76:77], v[94:95], -v[76:77]
	v_fma_f64 v[92:93], v[195:196], s[2:3], v[92:93]
	s_delay_alu instid0(VALU_DEP_4) | instskip(SKIP_1) | instid1(VALU_DEP_3)
	v_add_f64_e32 v[96:97], v[90:91], v[88:89]
	v_add_f64_e64 v[88:89], v[90:91], -v[88:89]
	v_add_f64_e32 v[90:91], v[78:79], v[92:93]
	v_add_f64_e64 v[78:79], v[78:79], -v[92:93]
	v_mul_f64_e32 v[92:93], s[2:3], v[202:203]
	ds_store_2addr_b64 v232, v[96:97], v[98:99] offset0:80 offset1:140
	ds_store_2addr_b64 v233, v[90:91], v[88:89] offset0:72 offset1:132
	v_add_f64_e32 v[90:91], v[110:111], v[122:123]
	ds_store_2addr_b64 v233, v[76:77], v[78:79] offset0:192 offset1:252
	v_add_f64_e64 v[76:77], v[112:113], -v[124:125]
	v_add_f64_e32 v[88:89], v[70:71], v[110:111]
	v_add_f64_e32 v[78:79], v[106:107], v[120:121]
	v_fma_f64 v[92:93], v[199:200], 0.5, v[92:93]
	v_fma_f64 v[70:71], v[90:91], -0.5, v[70:71]
	s_delay_alu instid0(VALU_DEP_4) | instskip(NEXT) | instid1(VALU_DEP_4)
	v_add_f64_e32 v[88:89], v[88:89], v[122:123]
	v_add_f64_e32 v[78:79], v[78:79], v[134:135]
	s_delay_alu instid0(VALU_DEP_3) | instskip(SKIP_2) | instid1(VALU_DEP_4)
	v_fma_f64 v[90:91], v[76:77], s[2:3], v[70:71]
	v_fma_f64 v[70:71], v[76:77], s[0:1], v[70:71]
	v_mul_f64_e32 v[76:77], -0.5, v[206:207]
	v_add_f64_e32 v[94:95], v[88:89], v[78:79]
	v_add_f64_e64 v[78:79], v[88:89], -v[78:79]
	v_add_f64_e32 v[96:97], v[90:91], v[92:93]
	s_delay_alu instid0(VALU_DEP_4)
	v_fma_f64 v[76:77], v[204:205], s[2:3], v[76:77]
	ds_store_2addr_b64 v234, v[94:95], v[96:97] offset0:56 offset1:116
	v_add_f64_e32 v[88:89], v[70:71], v[76:77]
	v_add_f64_e64 v[70:71], v[70:71], -v[76:77]
	v_add_f64_e32 v[76:77], v[132:133], v[152:153]
	ds_store_2addr_b64 v234, v[88:89], v[78:79] offset0:176 offset1:236
	v_add_f64_e64 v[78:79], v[90:91], -v[92:93]
	v_add_f64_e32 v[88:89], v[146:147], v[162:163]
	v_add_f64_e32 v[76:77], v[76:77], v[166:167]
	v_mul_f64_e32 v[90:91], s[2:3], v[210:211]
	ds_store_2addr_b64 v235, v[78:79], v[70:71] offset0:40 offset1:100
	v_add_f64_e64 v[70:71], v[148:149], -v[164:165]
	v_add_f64_e32 v[78:79], v[72:73], v[146:147]
	v_fma_f64 v[72:73], v[88:89], -0.5, v[72:73]
	v_fma_f64 v[90:91], v[208:209], 0.5, v[90:91]
	s_delay_alu instid0(VALU_DEP_3) | instskip(NEXT) | instid1(VALU_DEP_3)
	v_add_f64_e32 v[78:79], v[78:79], v[162:163]
	v_fma_f64 v[88:89], v[70:71], s[2:3], v[72:73]
	v_fma_f64 v[70:71], v[70:71], s[0:1], v[72:73]
	v_mul_f64_e32 v[72:73], -0.5, v[214:215]
	s_delay_alu instid0(VALU_DEP_4) | instskip(SKIP_2) | instid1(VALU_DEP_4)
	v_add_f64_e32 v[92:93], v[78:79], v[76:77]
	v_add_f64_e64 v[76:77], v[78:79], -v[76:77]
	v_add_f64_e32 v[94:95], v[88:89], v[90:91]
	v_fma_f64 v[72:73], v[212:213], s[2:3], v[72:73]
	ds_store_2addr_b64 v236, v[92:93], v[94:95] offset0:160 offset1:220
	v_add_f64_e32 v[78:79], v[70:71], v[72:73]
	v_add_f64_e64 v[70:71], v[70:71], -v[72:73]
	v_add_f64_e32 v[72:73], v[74:75], v[144:145]
	ds_store_2addr_b64 v237, v[78:79], v[76:77] offset0:24 offset1:84
	v_add_f64_e64 v[76:77], v[88:89], -v[90:91]
	v_add_f64_e32 v[72:73], v[72:73], v[156:157]
	v_mul_f64_e32 v[78:79], s[2:3], v[218:219]
	ds_store_2addr_b64 v237, v[76:77], v[70:71] offset0:144 offset1:204
	v_add_f64_e32 v[70:71], v[144:145], v[156:157]
	v_add_f64_e64 v[76:77], v[138:139], -v[154:155]
	v_fma_f64 v[78:79], v[216:217], 0.5, v[78:79]
	s_delay_alu instid0(VALU_DEP_3) | instskip(SKIP_1) | instid1(VALU_DEP_2)
	v_fma_f64 v[70:71], v[70:71], -0.5, v[74:75]
	v_add_f64_e32 v[74:75], v[136:137], v[150:151]
	v_fma_f64 v[88:89], v[76:77], s[2:3], v[70:71]
	v_fma_f64 v[70:71], v[76:77], s[0:1], v[70:71]
	v_mul_f64_e32 v[76:77], -0.5, v[222:223]
	s_delay_alu instid0(VALU_DEP_4) | instskip(NEXT) | instid1(VALU_DEP_4)
	v_add_f64_e32 v[74:75], v[74:75], v[158:159]
	v_add_f64_e32 v[92:93], v[88:89], v[78:79]
	s_delay_alu instid0(VALU_DEP_3) | instskip(NEXT) | instid1(VALU_DEP_3)
	v_fma_f64 v[76:77], v[220:221], s[2:3], v[76:77]
	v_add_f64_e32 v[90:91], v[72:73], v[74:75]
	v_add_f64_e64 v[72:73], v[72:73], -v[74:75]
	s_delay_alu instid0(VALU_DEP_3)
	v_add_f64_e32 v[74:75], v[70:71], v[76:77]
	v_add_f64_e64 v[70:71], v[70:71], -v[76:77]
	ds_store_2addr_b64 v238, v[90:91], v[92:93] offset0:8 offset1:68
	ds_store_2addr_b64 v238, v[74:75], v[72:73] offset0:128 offset1:188
	v_add_f64_e64 v[72:73], v[88:89], -v[78:79]
	ds_store_2addr_b64 v239, v[72:73], v[70:71] offset0:120 offset1:180
	v_add_f64_e32 v[70:71], v[80:81], v[84:85]
	v_add_f64_e32 v[72:73], v[224:225], v[228:229]
	s_delay_alu instid0(VALU_DEP_2) | instskip(NEXT) | instid1(VALU_DEP_1)
	v_add_f64_e32 v[70:71], v[70:71], v[102:103]
	v_add_f64_e32 v[74:75], v[68:69], v[70:71]
	v_add_f64_e64 v[68:69], v[68:69], -v[70:71]
	v_add_f64_e32 v[70:71], v[226:227], v[230:231]
	ds_store_2addr_b64 v171, v[74:75], v[72:73] offset1:60
	ds_store_2addr_b64 v171, v[70:71], v[68:69] offset0:120 offset1:180
	global_wb scope:SCOPE_SE
	s_wait_dscnt 0x0
	s_barrier_signal -1
	s_barrier_wait -1
	global_inv scope:SCOPE_SE
	s_and_saveexec_b32 s6, vcc_lo
	s_cbranch_execz .LBB0_21
; %bb.20:
	v_mad_u32_u24 v104, v168, 5, 0xfffffed4
	v_mul_u32_u24_e32 v70, 5, v168
	v_mov_b32_e32 v105, 0
	v_add_co_u32 v110, s6, s4, v185
	s_wait_alu 0xf1fe
	v_add_co_ci_u32_e64 v111, null, s5, 0, s6
	v_lshlrev_b32_e32 v100, 4, v70
	v_lshlrev_b64_e32 v[68:69], 4, v[104:105]
	v_mad_u32_u24 v104, v168, 5, 0xfffffda8
	v_add_nc_u32_e32 v182, 0x1800, v171
	v_add_nc_u32_e32 v193, 0x3000, v171
	;; [unrolled: 1-line block ×4, first 2 shown]
	v_add_co_u32 v96, vcc_lo, s4, v68
	s_wait_alu 0xfffd
	v_add_co_ci_u32_e32 v97, vcc_lo, s5, v69, vcc_lo
	s_clause 0x9
	global_load_b128 v[76:79], v100, s[4:5] offset:5616
	global_load_b128 v[88:91], v[96:97], off offset:5616
	global_load_b128 v[84:87], v100, s[4:5] offset:5648
	global_load_b128 v[80:83], v[96:97], off offset:5648
	;; [unrolled: 2-line block ×5, first 2 shown]
	v_lshlrev_b64_e32 v[98:99], 4, v[104:105]
	v_mul_i32_i24_e32 v104, 5, v201
	s_delay_alu instid0(VALU_DEP_1) | instskip(NEXT) | instid1(VALU_DEP_3)
	v_lshlrev_b64_e32 v[100:101], 4, v[104:105]
	v_add_co_u32 v106, vcc_lo, s4, v98
	s_wait_alu 0xfffd
	s_delay_alu instid0(VALU_DEP_4) | instskip(SKIP_1) | instid1(VALU_DEP_4)
	v_add_co_ci_u32_e32 v107, vcc_lo, s5, v99, vcc_lo
	v_mul_i32_i24_e32 v104, 5, v253
	v_add_co_u32 v108, vcc_lo, s4, v100
	s_wait_alu 0xfffd
	v_add_co_ci_u32_e32 v109, vcc_lo, s5, v101, vcc_lo
	s_clause 0xa
	global_load_b128 v[96:99], v[106:107], off offset:5616
	global_load_b128 v[100:103], v[108:109], off offset:5616
	;; [unrolled: 1-line block ×11, first 2 shown]
	v_lshlrev_b64_e32 v[104:105], 4, v[104:105]
	s_clause 0x1
	global_load_b128 v[116:119], v[108:109], off offset:5632
	global_load_b128 v[136:139], v[108:109], off offset:5648
	v_add_co_u32 v110, vcc_lo, s4, v104
	s_wait_alu 0xfffd
	v_add_co_ci_u32_e32 v111, vcc_lo, s5, v105, vcc_lo
	s_clause 0x6
	global_load_b128 v[132:135], v[108:109], off offset:5664
	global_load_b128 v[128:131], v[108:109], off offset:5600
	;; [unrolled: 1-line block ×7, first 2 shown]
	ds_load_2addr_b64 v[207:210], v182 offset0:192 offset1:252
	ds_load_2addr_b64 v[211:214], v193 offset0:144 offset1:204
	;; [unrolled: 1-line block ×3, first 2 shown]
	s_wait_loadcnt_dscnt 0x1d02
	v_mul_f64_e32 v[144:145], v[78:79], v[209:210]
	s_wait_loadcnt 0x1c
	v_mul_f64_e32 v[180:181], v[90:91], v[207:208]
	v_mul_f64_e32 v[166:167], v[76:77], v[209:210]
	;; [unrolled: 1-line block ×3, first 2 shown]
	v_add_nc_u32_e32 v207, 0x3c00, v171
	s_wait_loadcnt_dscnt 0x1b01
	v_mul_f64_e32 v[221:222], v[86:87], v[213:214]
	v_mul_f64_e32 v[223:224], v[84:85], v[213:214]
	s_wait_loadcnt 0x1a
	v_mul_f64_e32 v[225:226], v[82:83], v[211:212]
	v_mul_f64_e32 v[227:228], v[80:81], v[211:212]
	ds_load_2addr_b64 v[207:210], v207 offset0:120 offset1:180
	ds_load_2addr_b64 v[211:214], v229 offset0:88 offset1:148
	s_wait_loadcnt_dscnt 0x1902
	v_mul_f64_e32 v[229:230], v[74:75], v[217:218]
	v_mul_f64_e32 v[231:232], v[72:73], v[217:218]
	s_wait_loadcnt 0x18
	v_mul_f64_e32 v[233:234], v[70:71], v[215:216]
	v_mul_f64_e32 v[235:236], v[68:69], v[215:216]
	ds_load_2addr_b64 v[215:218], v182 offset0:72 offset1:132
	s_wait_loadcnt_dscnt 0x1702
	v_mul_f64_e32 v[237:238], v[94:95], v[209:210]
	v_mul_f64_e32 v[239:240], v[92:93], v[209:210]
	s_wait_loadcnt_dscnt 0x1501
	v_mul_f64_e32 v[245:246], v[152:153], v[213:214]
	v_mul_f64_e32 v[247:248], v[150:151], v[213:214]
	v_add_nc_u32_e32 v209, 0x1400, v171
	v_mul_f64_e32 v[241:242], v[148:149], v[207:208]
	v_mul_f64_e32 v[243:244], v[146:147], v[207:208]
	v_fma_f64 v[144:145], v[66:67], v[76:77], -v[144:145]
	v_fma_f64 v[76:77], v[64:65], v[88:89], -v[180:181]
	s_wait_loadcnt 0x14
	v_mul_f64_e32 v[180:181], v[156:157], v[211:212]
	v_fma_f64 v[166:167], v[66:67], v[78:79], v[166:167]
	v_fma_f64 v[78:79], v[64:65], v[90:91], v[219:220]
	ds_load_2addr_b64 v[88:91], v209 offset0:80 offset1:140
	v_mul_f64_e32 v[219:220], v[154:155], v[211:212]
	ds_load_2addr_b64 v[207:210], v249 offset0:160 offset1:220
	v_add_nc_u32_e32 v212, 0x800, v171
	v_fma_f64 v[64:65], v[62:63], v[84:85], -v[221:222]
	v_fma_f64 v[66:67], v[62:63], v[86:87], v[223:224]
	v_fma_f64 v[62:63], v[60:61], v[80:81], -v[225:226]
	v_fma_f64 v[60:61], v[60:61], v[82:83], v[227:228]
	;; [unrolled: 2-line block ×3, first 2 shown]
	ds_load_2addr_b64 v[72:75], v212 offset0:104 offset1:164
	v_fma_f64 v[231:232], v[56:57], v[68:69], -v[233:234]
	v_fma_f64 v[70:71], v[56:57], v[70:71], v[235:236]
	v_add_nc_u32_e32 v249, 0x3800, v171
	s_wait_loadcnt_dscnt 0x1203
	v_mul_f64_e32 v[223:224], v[102:103], v[215:216]
	v_mul_f64_e32 v[215:216], v[100:101], v[215:216]
	;; [unrolled: 1-line block ×4, first 2 shown]
	ds_load_2addr_b64 v[80:83], v249 offset0:8 offset1:68
	s_wait_loadcnt_dscnt 0x1103
	v_mul_f64_e32 v[229:230], v[160:161], v[88:89]
	v_mul_f64_e32 v[88:89], v[158:159], v[88:89]
	s_wait_loadcnt_dscnt 0x1002
	v_mul_f64_e32 v[233:234], v[164:165], v[207:208]
	v_mul_f64_e32 v[207:208], v[162:163], v[207:208]
	v_fma_f64 v[56:57], v[54:55], v[92:93], -v[237:238]
	v_fma_f64 v[58:59], v[54:55], v[94:95], v[239:240]
	v_fma_f64 v[237:238], v[50:51], v[150:151], -v[245:246]
	v_fma_f64 v[239:240], v[50:51], v[152:153], v[247:248]
	;; [unrolled: 2-line block ×3, first 2 shown]
	v_fma_f64 v[50:51], v[48:49], v[154:155], -v[180:181]
	s_wait_loadcnt_dscnt 0xd01
	v_mul_f64_e32 v[154:155], v[187:188], v[72:73]
	v_mul_f64_e32 v[72:73], v[185:186], v[72:73]
	s_wait_dscnt 0x0
	v_mul_f64_e32 v[241:242], v[178:179], v[80:81]
	v_mul_f64_e32 v[80:81], v[176:177], v[80:81]
	v_fma_f64 v[48:49], v[48:49], v[156:157], v[219:220]
	v_fma_f64 v[100:101], v[44:45], v[100:101], -v[223:224]
	v_fma_f64 v[102:103], v[44:45], v[102:103], v[215:216]
	v_add_nc_u32_e32 v216, 0x474, v194
	v_fma_f64 v[96:97], v[46:47], v[96:97], -v[221:222]
	v_fma_f64 v[46:47], v[46:47], v[98:99], v[217:218]
	v_add_nc_u32_e32 v217, 0x438, v194
	v_fma_f64 v[158:159], v[16:17], v[158:159], -v[229:230]
	v_fma_f64 v[16:17], v[16:17], v[160:161], v[88:89]
	v_fma_f64 v[160:161], v[28:29], v[162:163], -v[233:234]
	v_fma_f64 v[28:29], v[28:29], v[164:165], v[207:208]
	v_add_nc_u32_e32 v208, 0x708, v194
	v_mad_co_u64_u32 v[98:99], null, s8, v194, 0
	v_mad_co_u64_u32 v[162:163], null, s8, v217, 0
	v_add_nc_u32_e32 v207, 0x5a0, v194
	s_wait_loadcnt 0x1
	v_mul_f64_e32 v[221:222], v[114:115], v[82:83]
	v_mul_f64_e32 v[82:83], v[112:113], v[82:83]
	s_wait_loadcnt 0x0
	v_mul_f64_e32 v[223:224], v[110:111], v[74:75]
	v_mul_f64_e32 v[74:75], v[108:109], v[74:75]
	v_fma_f64 v[154:155], v[24:25], v[185:186], -v[154:155]
	v_fma_f64 v[72:73], v[24:25], v[187:188], v[72:73]
	v_mad_co_u64_u32 v[187:188], null, s8, v208, 0
	v_add_nc_u32_e32 v211, 0x2000, v171
	v_mad_co_u64_u32 v[185:186], null, s8, v207, 0
	ds_load_2addr_b64 v[84:87], v211 offset0:56 offset1:116
	ds_load_2addr_b64 v[92:95], v193 offset0:24 offset1:84
	;; [unrolled: 1-line block ×3, first 2 shown]
	scratch_load_b64 v[68:69], off, off th:TH_LOAD_LU ; 8-byte Folded Reload
	ds_load_2addr_b64 v[146:149], v249 offset0:128 offset1:188
	v_add_nc_u32_e32 v193, 0x2d0, v194
	s_wait_dscnt 0x2
	v_mul_f64_e32 v[156:157], v[191:192], v[94:95]
	v_mul_f64_e32 v[235:236], v[174:175], v[84:85]
	v_mul_f64_e32 v[84:85], v[172:173], v[84:85]
	s_wait_dscnt 0x1
	v_mul_f64_e32 v[44:45], v[197:198], v[213:214]
	v_mul_f64_e32 v[180:181], v[195:196], v[213:214]
	v_mul_f64_e32 v[94:95], v[189:190], v[94:95]
	s_wait_dscnt 0x0
	v_mul_f64_e32 v[213:214], v[201:202], v[148:149]
	v_mul_f64_e32 v[148:149], v[199:200], v[148:149]
	v_mul_f64_e32 v[219:220], v[106:107], v[86:87]
	v_mul_f64_e32 v[86:87], v[104:105], v[86:87]
	v_fma_f64 v[156:157], v[42:43], v[189:190], -v[156:157]
	v_fma_f64 v[164:165], v[8:9], v[172:173], -v[235:236]
	v_fma_f64 v[172:173], v[12:13], v[176:177], -v[241:242]
	v_fma_f64 v[12:13], v[12:13], v[178:179], v[80:81]
	v_mad_co_u64_u32 v[80:81], null, s8, v216, 0
	v_add_nc_u32_e32 v182, 0xc00, v171
	v_fma_f64 v[8:9], v[8:9], v[174:175], v[84:85]
	v_mad_co_u64_u32 v[174:175], null, s8, v255, 0
	v_fma_f64 v[189:190], v[22:23], v[195:196], -v[44:45]
	v_fma_f64 v[180:181], v[22:23], v[197:198], v[180:181]
	v_mov_b32_e32 v25, v81
	ds_load_2addr_b64 v[150:153], v182 offset0:96 offset1:156
	v_dual_mov_b32 v22, v99 :: v_dual_mov_b32 v23, v163
	v_fma_f64 v[94:95], v[42:43], v[191:192], v[94:95]
	v_mov_b32_e32 v42, v175
	v_mad_co_u64_u32 v[178:179], null, s8, v193, 0
	s_delay_alu instid0(VALU_DEP_4)
	v_mad_co_u64_u32 v[43:44], null, s9, v194, v[22:23]
	v_add_nc_u32_e32 v182, 0x168, v194
	v_fma_f64 v[191:192], v[34:35], v[199:200], -v[213:214]
	v_fma_f64 v[34:35], v[34:35], v[201:202], v[148:149]
	v_fma_f64 v[104:105], v[10:11], v[104:105], -v[219:220]
	v_fma_f64 v[10:11], v[10:11], v[106:107], v[86:87]
	v_mov_b32_e32 v99, v43
	v_mad_co_u64_u32 v[176:177], null, s8, v182, 0
	s_wait_dscnt 0x0
	v_mul_f64_e32 v[88:89], v[205:206], v[152:153]
	v_mul_f64_e32 v[152:153], v[203:204], v[152:153]
	v_lshlrev_b64_e32 v[98:99], 4, v[98:99]
	v_mul_f64_e32 v[213:214], v[130:131], v[150:151]
	v_mov_b32_e32 v22, v177
	v_mul_f64_e32 v[150:151], v[128:129], v[150:151]
	v_add_f64_e32 v[245:246], v[96:97], v[156:157]
	v_add_f64_e32 v[86:87], v[164:165], v[172:173]
	v_add_f64_e64 v[106:107], v[8:9], -v[12:13]
	v_add_f64_e64 v[235:236], v[189:190], -v[191:192]
	;; [unrolled: 1-line block ×3, first 2 shown]
	v_add_f64_e32 v[241:242], v[180:181], v[34:35]
	v_fma_f64 v[88:89], v[38:39], v[203:204], -v[88:89]
	v_fma_f64 v[38:39], v[38:39], v[205:206], v[152:153]
	v_mad_co_u64_u32 v[152:153], null, s9, v255, v[42:43]
	v_add_nc_u32_e32 v255, 0x1e0, v194
	v_fma_f64 v[86:87], v[86:87], -0.5, v[154:155]
	s_delay_alu instid0(VALU_DEP_2) | instskip(SKIP_2) | instid1(VALU_DEP_2)
	v_mad_co_u64_u32 v[229:230], null, s8, v255, 0
	v_add_nc_u32_e32 v215, 60, v194
	v_mov_b32_e32 v175, v152
	v_mad_co_u64_u32 v[84:85], null, s8, v215, 0
	s_delay_alu instid0(VALU_DEP_1) | instskip(NEXT) | instid1(VALU_DEP_1)
	v_mov_b32_e32 v24, v85
	v_mad_co_u64_u32 v[44:45], null, s9, v217, v[23:24]
	v_mad_co_u64_u32 v[23:24], null, s9, v215, v[24:25]
	v_dual_mov_b32 v24, v179 :: v_dual_add_nc_u32 v45, 0x30c, v194
	v_mul_f64_e32 v[217:218], v[122:123], v[209:210]
	s_delay_alu instid0(VALU_DEP_4) | instskip(NEXT) | instid1(VALU_DEP_4)
	v_mov_b32_e32 v163, v44
	v_mov_b32_e32 v85, v23
	v_mad_co_u64_u32 v[148:149], null, s9, v216, v[25:26]
	v_mov_b32_e32 v25, v186
	s_delay_alu instid0(VALU_DEP_4)
	v_lshlrev_b64_e32 v[162:163], 4, v[162:163]
	v_mad_co_u64_u32 v[195:196], null, s9, v182, v[22:23]
	v_mov_b32_e32 v22, v188
	v_lshlrev_b64_e32 v[84:85], 4, v[84:85]
	v_dual_mov_b32 v81, v148 :: v_dual_add_nc_u32 v182, 0x744, v194
	v_mad_co_u64_u32 v[196:197], null, s9, v193, v[24:25]
	s_delay_alu instid0(VALU_DEP_4) | instskip(NEXT) | instid1(VALU_DEP_3)
	v_mad_co_u64_u32 v[197:198], null, s9, v208, v[22:23]
	v_lshlrev_b64_e32 v[80:81], 4, v[80:81]
	v_mul_f64_e32 v[215:216], v[126:127], v[90:91]
	v_mul_f64_e32 v[90:91], v[124:125], v[90:91]
	v_mad_co_u64_u32 v[200:201], null, s8, v45, 0
	v_mul_f64_e32 v[208:209], v[120:121], v[209:210]
	v_mov_b32_e32 v188, v197
	v_mad_co_u64_u32 v[24:25], null, s9, v207, v[25:26]
	v_mul_f64_e32 v[206:207], v[116:117], v[211:212]
	v_add_nc_u32_e32 v25, 0x1a4, v194
	v_mov_b32_e32 v23, v201
	v_mad_co_u64_u32 v[152:153], null, s8, v182, 0
	v_mov_b32_e32 v177, v195
	s_delay_alu instid0(VALU_DEP_4)
	v_mad_co_u64_u32 v[198:199], null, s8, v25, 0
	v_dual_mov_b32 v179, v196 :: v_dual_mov_b32 v186, v24
	v_fma_f64 v[120:121], v[30:31], v[120:121], -v[217:218]
	v_add_f64_e32 v[180:181], v[38:39], v[180:181]
	v_fma_f64 v[38:39], v[241:242], -0.5, v[38:39]
	v_lshlrev_b64_e32 v[176:177], 4, v[176:177]
	v_mov_b32_e32 v22, v199
	v_lshlrev_b64_e32 v[178:179], 4, v[178:179]
	s_delay_alu instid0(VALU_DEP_2) | instskip(SKIP_3) | instid1(VALU_DEP_3)
	v_mad_co_u64_u32 v[42:43], null, s9, v25, v[22:23]
	v_add_nc_u32_e32 v25, 0x5dc, v194
	v_mad_co_u64_u32 v[43:44], null, s9, v45, v[23:24]
	v_mov_b32_e32 v23, v153
	v_mad_co_u64_u32 v[148:149], null, s8, v25, 0
	v_mov_b32_e32 v199, v42
	s_delay_alu instid0(VALU_DEP_3) | instskip(SKIP_1) | instid1(VALU_DEP_3)
	v_mad_co_u64_u32 v[195:196], null, s9, v182, v[23:24]
	v_mov_b32_e32 v201, v43
	v_lshlrev_b64_e32 v[198:199], 4, v[198:199]
	v_mov_b32_e32 v22, v149
	v_fma_f64 v[30:31], v[30:31], v[122:123], v[208:209]
	v_add_f64_e32 v[122:123], v[158:159], v[160:161]
	v_add_f64_e32 v[208:209], v[78:79], v[60:61]
	v_mov_b32_e32 v153, v195
	v_mad_co_u64_u32 v[44:45], null, s9, v25, v[22:23]
	v_add_nc_u32_e32 v45, 0x400, v171
	ds_load_2addr_b64 v[22:25], v171 offset1:180
	ds_load_b64 v[196:197], v184
	ds_load_b64 v[182:183], v183
	v_lshlrev_b64_e32 v[184:185], 4, v[185:186]
	v_lshlrev_b64_e32 v[186:187], 4, v[187:188]
	;; [unrolled: 1-line block ×3, first 2 shown]
	v_mov_b32_e32 v149, v44
	ds_load_2addr_b64 v[42:45], v45 offset0:112 offset1:172
	v_lshlrev_b64_e32 v[148:149], 4, v[148:149]
	s_wait_dscnt 0x3
	v_add_f64_e32 v[243:244], v[46:47], v[24:25]
	s_wait_dscnt 0x0
	v_add_f64_e32 v[218:219], v[78:79], v[42:43]
	v_add_f64_e64 v[78:79], v[78:79], -v[60:61]
	v_fma_f64 v[42:43], v[208:209], -0.5, v[42:43]
	s_delay_alu instid0(VALU_DEP_3) | instskip(SKIP_4) | instid1(VALU_DEP_2)
	v_add_f64_e32 v[60:61], v[60:61], v[218:219]
	s_wait_loadcnt 0x0
	v_add_co_u32 v68, vcc_lo, s10, v68
	s_wait_alu 0xfffd
	v_add_co_ci_u32_e32 v69, vcc_lo, s11, v69, vcc_lo
	v_add_co_u32 v98, vcc_lo, v68, v98
	s_wait_alu 0xfffd
	s_delay_alu instid0(VALU_DEP_2)
	v_add_co_ci_u32_e32 v99, vcc_lo, v69, v99, vcc_lo
	v_add_co_u32 v162, vcc_lo, v68, v162
	s_wait_alu 0xfffd
	v_add_co_ci_u32_e32 v163, vcc_lo, v69, v163, vcc_lo
	v_add_co_u32 v202, vcc_lo, v68, v84
	s_wait_alu 0xfffd
	;; [unrolled: 3-line block ×3, first 2 shown]
	v_add_co_ci_u32_e32 v205, vcc_lo, v69, v81, vcc_lo
	v_mul_f64_e32 v[80:81], v[138:139], v[92:93]
	v_mul_f64_e32 v[84:85], v[136:137], v[92:93]
	;; [unrolled: 1-line block ×5, first 2 shown]
	v_add_co_u32 v176, vcc_lo, v68, v176
	s_wait_alu 0xfffd
	v_add_co_ci_u32_e32 v177, vcc_lo, v69, v177, vcc_lo
	v_add_co_u32 v178, vcc_lo, v68, v178
	s_wait_alu 0xfffd
	v_add_co_ci_u32_e32 v179, vcc_lo, v69, v179, vcc_lo
	;; [unrolled: 3-line block ×7, first 2 shown]
	v_fma_f64 v[80:81], v[40:41], v[136:137], -v[80:81]
	v_fma_f64 v[40:41], v[40:41], v[138:139], v[84:85]
	v_fma_f64 v[92:93], v[20:21], v[116:117], -v[92:93]
	v_fma_f64 v[20:21], v[20:21], v[118:119], v[206:207]
	;; [unrolled: 2-line block ×3, first 2 shown]
	v_fma_f64 v[90:91], v[26:27], v[108:109], -v[223:224]
	v_fma_f64 v[108:109], v[14:15], v[112:113], -v[221:222]
	v_fma_f64 v[14:15], v[14:15], v[114:115], v[82:83]
	v_add_f64_e32 v[124:125], v[0:1], v[158:159]
	v_add_f64_e32 v[126:127], v[154:155], v[164:165]
	v_fma_f64 v[84:85], v[36:37], v[128:129], -v[213:214]
	v_fma_f64 v[116:117], v[32:33], v[132:133], -v[211:212]
	v_fma_f64 v[26:27], v[26:27], v[110:111], v[74:75]
	v_add_f64_e64 v[74:75], v[158:159], -v[160:161]
	v_add_f64_e32 v[82:83], v[16:17], v[28:29]
	v_add_f64_e32 v[112:113], v[8:9], v[12:13]
	v_add_f64_e64 v[128:129], v[144:145], -v[64:65]
	v_add_f64_e32 v[132:133], v[225:226], v[56:57]
	v_add_f64_e32 v[158:159], v[144:145], v[64:65]
	;; [unrolled: 1-line block ×3, first 2 shown]
	v_fma_f64 v[32:33], v[32:33], v[134:135], v[146:147]
	v_fma_f64 v[36:37], v[36:37], v[130:131], v[150:151]
	v_add_f64_e64 v[110:111], v[164:165], -v[172:173]
	v_add_f64_e32 v[114:115], v[16:17], v[22:23]
	v_add_f64_e32 v[8:9], v[72:73], v[8:9]
	;; [unrolled: 1-line block ×6, first 2 shown]
	v_add_f64_e64 v[212:213], v[70:71], -v[52:53]
	v_add_f64_e32 v[216:217], v[70:71], v[52:53]
	v_add_f64_e32 v[70:71], v[48:49], v[70:71]
	;; [unrolled: 1-line block ×3, first 2 shown]
	v_add_f64_e64 v[134:135], v[227:228], -v[58:59]
	v_add_f64_e64 v[136:137], v[225:226], -v[56:57]
	v_add_f64_e64 v[164:165], v[166:167], -v[66:67]
	v_add_f64_e32 v[166:167], v[237:238], v[225:226]
	v_add_f64_e64 v[206:207], v[76:77], -v[62:63]
	v_add_f64_e32 v[210:211], v[231:232], v[54:55]
	v_add_f64_e64 v[214:215], v[231:232], -v[54:55]
	v_add_f64_e32 v[76:77], v[4:5], v[76:77]
	v_add_f64_e32 v[222:223], v[50:51], v[231:232]
	;; [unrolled: 1-line block ×4, first 2 shown]
	v_add_f64_e64 v[16:17], v[16:17], -v[28:29]
	v_add_f64_e64 v[224:225], v[96:97], -v[156:157]
	v_add_f64_e32 v[124:125], v[124:125], v[160:161]
	v_add_f64_e32 v[160:161], v[10:11], v[14:15]
	;; [unrolled: 1-line block ×5, first 2 shown]
	v_add_f64_e64 v[154:155], v[92:93], -v[116:117]
	v_add_f64_e32 v[92:93], v[84:85], v[92:93]
	v_fma_f64 v[72:73], v[112:113], -0.5, v[72:73]
	v_fma_f64 v[22:23], v[82:83], -0.5, v[22:23]
	;; [unrolled: 1-line block ×3, first 2 shown]
	v_add_f64_e64 v[237:238], v[118:119], -v[120:121]
	v_add_f64_e32 v[64:65], v[144:145], v[64:65]
	v_add_f64_e32 v[144:145], v[118:119], v[120:121]
	v_add_f64_e32 v[118:119], v[140:141], v[118:119]
	v_add_f64_e32 v[112:113], v[20:21], v[32:33]
	v_add_f64_e32 v[114:115], v[28:29], v[114:115]
	v_add_f64_e32 v[28:29], v[102:103], v[196:197]
	v_add_f64_e32 v[8:9], v[8:9], v[12:13]
	v_fma_f64 v[138:139], v[138:139], -0.5, v[239:240]
	v_add_f64_e32 v[66:67], v[66:67], v[146:147]
	v_add_f64_e64 v[146:147], v[10:11], -v[14:15]
	v_add_f64_e32 v[58:59], v[150:151], v[58:59]
	v_add_f64_e32 v[150:151], v[18:19], v[182:183]
	;; [unrolled: 1-line block ×3, first 2 shown]
	v_add_f64_e64 v[82:83], v[104:105], -v[108:109]
	v_fma_f64 v[44:45], v[130:131], -0.5, v[44:45]
	v_add_f64_e32 v[52:53], v[70:71], v[52:53]
	v_fma_f64 v[70:71], v[220:221], -0.5, v[4:5]
	v_add_f64_e32 v[96:97], v[2:3], v[96:97]
	v_add_f64_e32 v[249:250], v[102:103], v[40:41]
	;; [unrolled: 1-line block ×3, first 2 shown]
	v_fma_f64 v[0:1], v[122:123], -0.5, v[0:1]
	v_add_f64_e32 v[62:63], v[76:77], v[62:63]
	v_fma_f64 v[6:7], v[158:159], -0.5, v[6:7]
	v_fma_f64 v[76:77], v[226:227], -0.5, v[24:25]
	;; [unrolled: 1-line block ×5, first 2 shown]
	v_fma_f64 v[130:131], v[106:107], s[2:3], v[86:87]
	v_fma_f64 v[4:5], v[160:161], -0.5, v[26:27]
	v_add_f64_e64 v[46:47], v[46:47], -v[94:95]
	v_fma_f64 v[26:27], v[171:172], -0.5, v[90:91]
	v_add_f64_e32 v[188:189], v[88:89], v[189:190]
	v_add_f64_e64 v[253:254], v[20:21], -v[32:33]
	v_add_f64_e32 v[92:93], v[92:93], v[116:117]
	v_add_f64_e32 v[20:21], v[36:37], v[20:21]
	;; [unrolled: 1-line block ×4, first 2 shown]
	v_fma_f64 v[34:35], v[251:252], -0.5, v[84:85]
	v_add_f64_e64 v[247:248], v[100:101], -v[80:81]
	v_fma_f64 v[116:117], v[144:145], -0.5, v[140:141]
	v_add_f64_e32 v[118:119], v[118:119], v[120:121]
	v_fma_f64 v[120:121], v[74:75], s[0:1], v[22:23]
	v_fma_f64 v[140:141], v[110:111], s[0:1], v[72:73]
	v_fma_f64 v[22:23], v[74:75], s[2:3], v[22:23]
	v_fma_f64 v[72:73], v[110:111], s[2:3], v[72:73]
	v_fma_f64 v[74:75], v[106:107], s[0:1], v[86:87]
	v_fma_f64 v[36:37], v[112:113], -0.5, v[36:37]
	v_add_f64_e32 v[12:13], v[100:101], v[80:81]
	v_add_f64_e32 v[100:101], v[142:143], v[100:101]
	;; [unrolled: 1-line block ×3, first 2 shown]
	v_add_f64_e64 v[18:19], v[18:19], -v[30:31]
	v_add_f64_e32 v[84:85], v[40:41], v[28:29]
	v_add_f64_e32 v[112:113], v[30:31], v[150:151]
	;; [unrolled: 1-line block ×3, first 2 shown]
	v_add_f64_e64 v[30:31], v[114:115], -v[8:9]
	v_add_f64_e64 v[28:29], v[124:125], -v[126:127]
	v_add_f64_e32 v[10:11], v[114:115], v[8:9]
	v_add_f64_e32 v[8:9], v[124:125], v[126:127]
	v_fma_f64 v[106:107], v[128:129], s[0:1], v[44:45]
	v_fma_f64 v[110:111], v[134:135], s[2:3], v[132:133]
	v_fma_f64 v[114:115], v[136:137], s[0:1], v[138:139]
	v_fma_f64 v[124:125], v[128:129], s[2:3], v[44:45]
	v_fma_f64 v[44:45], v[134:135], s[0:1], v[132:133]
	v_fma_f64 v[126:127], v[136:137], s[2:3], v[138:139]
	v_add_f64_e32 v[166:167], v[90:91], v[104:105]
	v_add_f64_e32 v[54:55], v[222:223], v[54:55]
	v_fma_f64 v[134:135], v[82:83], s[0:1], v[4:5]
	v_fma_f64 v[82:83], v[82:83], s[2:3], v[4:5]
	;; [unrolled: 1-line block ×4, first 2 shown]
	v_add_f64_e32 v[96:97], v[96:97], v[156:157]
	v_fma_f64 v[122:123], v[249:250], -0.5, v[196:197]
	v_fma_f64 v[156:157], v[233:234], s[2:3], v[24:25]
	v_fma_f64 v[104:105], v[245:246], -0.5, v[2:3]
	v_fma_f64 v[86:87], v[16:17], s[2:3], v[0:1]
	v_fma_f64 v[16:17], v[16:17], s[0:1], v[0:1]
	v_add_f64_e64 v[2:3], v[66:67], -v[58:59]
	v_fma_f64 v[128:129], v[164:165], s[2:3], v[6:7]
	v_fma_f64 v[132:133], v[164:165], s[0:1], v[6:7]
	v_add_f64_e64 v[0:1], v[64:65], -v[56:57]
	v_add_f64_e32 v[6:7], v[66:67], v[58:59]
	v_add_f64_e32 v[4:5], v[64:65], v[56:57]
	v_fma_f64 v[56:57], v[214:215], s[0:1], v[48:49]
	v_fma_f64 v[58:59], v[212:213], s[0:1], v[50:51]
	;; [unrolled: 1-line block ×3, first 2 shown]
	v_mul_f64_e32 v[50:51], s[2:3], v[74:75]
	v_mul_f64_e32 v[180:181], s[0:1], v[72:73]
	v_fma_f64 v[66:67], v[214:215], s[2:3], v[48:49]
	v_mul_f64_e32 v[48:49], -0.5, v[140:141]
	v_mul_f64_e32 v[171:172], -0.5, v[130:131]
	v_fma_f64 v[160:161], v[154:155], s[0:1], v[36:37]
	v_fma_f64 v[164:165], v[253:254], s[0:1], v[34:35]
	;; [unrolled: 1-line block ×3, first 2 shown]
	v_add_f64_e32 v[90:91], v[188:189], v[191:192]
	v_add_f64_e32 v[80:81], v[100:101], v[80:81]
	v_fma_f64 v[100:101], v[239:240], -0.5, v[182:183]
	v_fma_f64 v[146:147], v[78:79], s[2:3], v[70:71]
	v_fma_f64 v[150:151], v[78:79], s[0:1], v[70:71]
	;; [unrolled: 1-line block ×7, first 2 shown]
	v_add_f64_e64 v[102:103], v[102:103], -v[40:41]
	v_mul_f64_e32 v[76:77], -0.5, v[134:135]
	v_mul_f64_e32 v[192:193], s[0:1], v[82:83]
	v_mul_f64_e32 v[190:191], s[2:3], v[136:137]
	v_mul_f64_e32 v[195:196], -0.5, v[138:139]
	v_add_f64_e32 v[20:21], v[20:21], v[32:33]
	v_fma_f64 v[12:13], v[12:13], -0.5, v[142:143]
	v_add_f64_e32 v[108:109], v[166:167], v[108:109]
	v_add_f64_e64 v[26:27], v[60:61], -v[52:53]
	v_fma_f64 v[166:167], v[253:254], s[2:3], v[34:35]
	v_add_f64_e64 v[24:25], v[62:63], -v[54:55]
	v_add_f64_e32 v[34:35], v[60:61], v[52:53]
	v_add_f64_e32 v[32:33], v[62:63], v[54:55]
	v_mul_f64_e32 v[52:53], -0.5, v[114:115]
	v_mul_f64_e32 v[54:55], s[2:3], v[44:45]
	v_mul_f64_e32 v[60:61], -0.5, v[110:111]
	v_fma_f64 v[212:213], v[247:248], s[0:1], v[122:123]
	v_fma_f64 v[214:215], v[247:248], s[2:3], v[122:123]
	v_mul_f64_e32 v[122:123], -0.5, v[156:157]
	v_fma_f64 v[142:143], v[206:207], s[0:1], v[42:43]
	v_fma_f64 v[144:145], v[206:207], s[2:3], v[42:43]
	v_add_f64_e64 v[38:39], v[88:89], -v[94:95]
	v_add_f64_e32 v[42:43], v[88:89], v[94:95]
	v_mul_f64_e32 v[88:89], -0.5, v[56:57]
	v_fma_f64 v[226:227], v[72:73], 0.5, v[50:51]
	v_fma_f64 v[74:75], v[74:75], 0.5, v[180:181]
	v_fma_f64 v[130:131], v[130:131], s[2:3], v[48:49]
	v_fma_f64 v[140:141], v[140:141], s[0:1], v[171:172]
	v_mul_f64_e32 v[220:221], s[2:3], v[164:165]
	v_mul_f64_e32 v[224:225], s[0:1], v[154:155]
	;; [unrolled: 1-line block ×4, first 2 shown]
	v_fma_f64 v[206:207], v[46:47], s[2:3], v[104:105]
	v_fma_f64 v[208:209], v[46:47], s[0:1], v[104:105]
	v_mul_f64_e32 v[104:105], -0.5, v[64:65]
	v_mul_f64_e32 v[210:211], s[0:1], v[66:67]
	v_fma_f64 v[231:232], v[237:238], s[0:1], v[100:101]
	v_fma_f64 v[100:101], v[237:238], s[2:3], v[100:101]
	;; [unrolled: 1-line block ×4, first 2 shown]
	v_fma_f64 v[136:137], v[136:137], 0.5, v[192:193]
	v_fma_f64 v[190:191], v[82:83], 0.5, v[190:191]
	v_add_f64_e64 v[36:37], v[96:97], -v[90:91]
	v_add_f64_e32 v[40:41], v[96:97], v[90:91]
	v_mul_f64_e32 v[90:91], -0.5, v[70:71]
	v_mul_f64_e32 v[96:97], s[2:3], v[78:79]
	v_mul_f64_e32 v[216:217], s[0:1], v[158:159]
	v_fma_f64 v[138:139], v[138:139], s[2:3], v[76:77]
	v_fma_f64 v[134:135], v[134:135], s[0:1], v[195:196]
	;; [unrolled: 1-line block ×5, first 2 shown]
	v_fma_f64 v[110:111], v[126:127], 0.5, v[54:55]
	v_fma_f64 v[114:115], v[114:115], s[0:1], v[60:61]
	v_mul_f64_e32 v[218:219], -0.5, v[160:161]
	v_mul_f64_e32 v[222:223], -0.5, v[166:167]
	v_fma_f64 v[122:123], v[70:71], s[0:1], v[122:123]
	v_add_f64_e64 v[46:47], v[84:85], -v[20:21]
	v_add_f64_e32 v[50:51], v[84:85], v[20:21]
	v_add_f64_e32 v[48:49], v[80:81], v[92:93]
	v_add_f64_e64 v[52:53], v[118:119], -v[108:109]
	v_fma_f64 v[192:193], v[64:65], s[2:3], v[88:89]
	v_add_f64_e32 v[76:77], v[22:23], v[226:227]
	v_add_f64_e64 v[64:65], v[16:17], -v[74:75]
	v_add_f64_e32 v[74:75], v[16:17], v[74:75]
	v_add_f64_e32 v[72:73], v[120:121], v[130:131]
	;; [unrolled: 1-line block ×3, first 2 shown]
	v_fma_f64 v[154:155], v[154:155], 0.5, v[220:221]
	v_fma_f64 v[164:165], v[164:165], 0.5, v[224:225]
	v_fma_f64 v[195:196], v[66:67], 0.5, v[94:95]
	v_add_f64_e64 v[66:67], v[22:23], -v[226:227]
	v_fma_f64 v[126:127], v[44:45], 0.5, v[62:63]
	v_add_f64_e64 v[62:63], v[120:121], -v[130:131]
	v_add_f64_e64 v[60:61], v[86:87], -v[140:141]
	v_fma_f64 v[235:236], v[56:57], s[0:1], v[104:105]
	v_fma_f64 v[210:211], v[58:59], 0.5, v[210:211]
	v_add_f64_e32 v[58:59], v[112:113], v[14:15]
	v_add_f64_e32 v[56:57], v[118:119], v[108:109]
	;; [unrolled: 1-line block ×4, first 2 shown]
	v_add_f64_e64 v[44:45], v[80:81], -v[92:93]
	v_add_f64_e64 v[54:55], v[112:113], -v[14:15]
	v_fma_f64 v[118:119], v[156:157], s[2:3], v[90:91]
	v_fma_f64 v[156:157], v[158:159], 0.5, v[96:97]
	v_fma_f64 v[158:159], v[78:79], 0.5, v[216:217]
	v_add_f64_e32 v[80:81], v[231:232], v[138:139]
	v_add_f64_e32 v[78:79], v[233:234], v[134:135]
	global_store_b128 v[98:99], v[8:11], off
	v_add_f64_e64 v[88:89], v[100:101], -v[190:191]
	v_add_f64_e64 v[10:11], v[106:107], -v[102:103]
	;; [unrolled: 1-line block ×4, first 2 shown]
	v_add_f64_e32 v[18:19], v[106:107], v[102:103]
	v_add_f64_e32 v[22:23], v[124:125], v[110:111]
	;; [unrolled: 1-line block ×3, first 2 shown]
	v_add_f64_e64 v[86:87], v[116:117], -v[136:137]
	v_add_f64_e64 v[106:107], v[206:207], -v[122:123]
	v_add_f64_e32 v[114:115], v[206:207], v[122:123]
	v_add_f64_e64 v[124:125], v[231:232], -v[138:139]
	v_add_f64_e64 v[122:123], v[233:234], -v[134:135]
	v_fma_f64 v[166:167], v[166:167], s[2:3], v[218:219]
	v_fma_f64 v[160:161], v[160:161], s[0:1], v[222:223]
	s_clause 0x8
	global_store_b128 v[176:177], v[74:77], off
	global_store_b128 v[178:179], v[70:73], off
	;; [unrolled: 1-line block ×9, first 2 shown]
	v_lshlrev_b64_e32 v[29:30], 4, v[152:153]
	v_mov_b32_e32 v28, v230
	v_add_f64_e32 v[140:141], v[214:215], v[154:155]
	v_add_f64_e32 v[138:139], v[180:181], v[164:165]
	v_add_nc_u32_e32 v56, 0x348, v194
	v_lshlrev_b64_e32 v[52:53], 4, v[174:175]
	v_mad_co_u64_u32 v[54:55], null, s9, v255, v[28:29]
	v_add_co_u32 v28, vcc_lo, v68, v29
	s_wait_alu 0xfffd
	v_add_co_ci_u32_e32 v29, vcc_lo, v69, v30, vcc_lo
	v_mad_co_u64_u32 v[30:31], null, s8, v56, 0
	v_add_co_u32 v52, vcc_lo, v68, v52
	global_store_b128 v[148:149], v[86:89], off
	v_add_nc_u32_e32 v57, 0x4b0, v194
	s_wait_alu 0xfffd
	v_add_co_ci_u32_e32 v53, vcc_lo, v69, v53, vcc_lo
	global_store_b128 v[28:29], v[122:125], off
	v_mov_b32_e32 v28, v31
	v_mov_b32_e32 v230, v54
	v_mad_co_u64_u32 v[54:55], null, s8, v57, 0
	global_store_b128 v[52:53], v[48:51], off
	v_mad_co_u64_u32 v[28:29], null, s9, v56, v[28:29]
	v_add_nc_u32_e32 v52, 0x618, v194
	v_lshlrev_b64_e32 v[48:49], 4, v[229:230]
	v_add_f64_e32 v[136:137], v[212:213], v[166:167]
	v_mov_b32_e32 v29, v55
	v_add_f64_e32 v[134:135], v[171:172], v[160:161]
	v_mad_co_u64_u32 v[50:51], null, s8, v52, 0
	v_mov_b32_e32 v31, v28
	v_add_co_u32 v48, vcc_lo, v68, v48
	v_mad_co_u64_u32 v[28:29], null, s9, v57, v[29:30]
	s_delay_alu instid0(VALU_DEP_3)
	v_lshlrev_b64_e32 v[30:31], 4, v[30:31]
	s_wait_alu 0xfffd
	v_add_co_ci_u32_e32 v49, vcc_lo, v69, v49, vcc_lo
	v_mov_b32_e32 v29, v51
	v_add_f64_e64 v[12:13], v[132:133], -v[126:127]
	v_add_f64_e32 v[20:21], v[132:133], v[126:127]
	v_add_f64_e64 v[132:133], v[214:215], -v[154:155]
	v_add_f64_e64 v[130:131], v[180:181], -v[164:165]
	global_store_b128 v[48:49], v[138:141], off
	v_mad_co_u64_u32 v[48:49], null, s9, v52, v[29:30]
	v_or_b32_e32 v56, 0x780, v194
	v_mov_b32_e32 v55, v28
	v_add_co_u32 v28, vcc_lo, v68, v30
	s_wait_alu 0xfffd
	v_add_co_ci_u32_e32 v29, vcc_lo, v69, v31, vcc_lo
	v_mad_co_u64_u32 v[52:53], null, s8, v56, 0
	v_mov_b32_e32 v51, v48
	v_lshlrev_b64_e32 v[30:31], 4, v[54:55]
	v_mad_co_u64_u32 v[54:55], null, s8, v170, 0
	v_add_f64_e64 v[128:129], v[212:213], -v[166:167]
	s_delay_alu instid0(VALU_DEP_4) | instskip(SKIP_4) | instid1(VALU_DEP_3)
	v_lshlrev_b64_e32 v[49:50], 4, v[50:51]
	v_dual_mov_b32 v48, v53 :: v_dual_add_nc_u32 v51, 0x21c, v194
	v_add_co_u32 v30, vcc_lo, v68, v30
	s_wait_alu 0xfffd
	v_add_co_ci_u32_e32 v31, vcc_lo, v69, v31, vcc_lo
	v_mad_co_u64_u32 v[56:57], null, s9, v56, v[48:49]
	v_mad_co_u64_u32 v[57:58], null, s8, v51, 0
	v_add_f64_e64 v[126:127], v[171:172], -v[160:161]
	v_add_co_u32 v49, vcc_lo, v68, v49
	v_add_f64_e64 v[108:109], v[182:183], -v[118:119]
	v_mov_b32_e32 v53, v56
	v_add_f64_e32 v[116:117], v[182:183], v[118:119]
	v_add_f64_e32 v[120:121], v[188:189], v[156:157]
	;; [unrolled: 1-line block ×3, first 2 shown]
	s_wait_alu 0xfffd
	v_add_co_ci_u32_e32 v50, vcc_lo, v69, v50, vcc_lo
	s_clause 0x2
	global_store_b128 v[28:29], v[134:137], off
	global_store_b128 v[30:31], v[44:47], off
	;; [unrolled: 1-line block ×3, first 2 shown]
	v_lshlrev_b64_e32 v[29:30], 4, v[52:53]
	v_mov_b32_e32 v48, v55
	v_mov_b32_e32 v28, v58
	v_add_nc_u32_e32 v52, 0x384, v194
	v_add_nc_u32_e32 v53, 0x4ec, v194
	v_add_f64_e64 v[112:113], v[188:189], -v[156:157]
	v_mad_co_u64_u32 v[59:60], null, s9, v170, v[48:49]
	v_mad_co_u64_u32 v[44:45], null, s9, v51, v[28:29]
	;; [unrolled: 1-line block ×4, first 2 shown]
	s_delay_alu instid0(VALU_DEP_4)
	v_mov_b32_e32 v55, v59
	v_add_co_u32 v28, vcc_lo, v68, v29
	v_mov_b32_e32 v58, v44
	v_mov_b32_e32 v44, v46
	s_wait_alu 0xfffd
	v_add_co_ci_u32_e32 v29, vcc_lo, v69, v30, vcc_lo
	v_lshlrev_b64_e32 v[30:31], 4, v[54:55]
	v_lshrrev_b32_e32 v54, 3, v169
	v_mad_co_u64_u32 v[51:52], null, s9, v52, v[44:45]
	v_mov_b32_e32 v44, v48
	v_lshlrev_b64_e32 v[49:50], 4, v[57:58]
	v_add_co_u32 v30, vcc_lo, v68, v30
	s_wait_alu 0xfffd
	v_add_co_ci_u32_e32 v31, vcc_lo, v69, v31, vcc_lo
	v_mad_co_u64_u32 v[52:53], null, s9, v53, v[44:45]
	v_mul_hi_u32 v44, 0x16c16c17, v54
	v_add_co_u32 v48, vcc_lo, v68, v49
	s_wait_alu 0xfffd
	v_add_co_ci_u32_e32 v49, vcc_lo, v69, v50, vcc_lo
	v_mov_b32_e32 v46, v51
	s_clause 0x2
	global_store_b128 v[28:29], v[126:129], off
	global_store_b128 v[30:31], v[40:43], off
	;; [unrolled: 1-line block ×3, first 2 shown]
	v_mov_b32_e32 v48, v52
	v_lshrrev_b32_e32 v42, 2, v44
	v_add_f64_e64 v[110:111], v[208:209], -v[158:159]
	v_lshlrev_b64_e32 v[28:29], 4, v[45:46]
	v_add_nc_u32_e32 v46, 0x654, v194
	v_add_nc_u32_e32 v49, 0x7bc, v194
	v_mad_u32_u24 v52, 0x708, v42, v169
	v_lshlrev_b64_e32 v[44:45], 4, v[47:48]
	v_add_f64_e32 v[104:105], v[144:145], v[195:196]
	v_mad_co_u64_u32 v[30:31], null, s8, v46, 0
	s_delay_alu instid0(VALU_DEP_4)
	v_mad_co_u64_u32 v[42:43], null, s8, v52, 0
	v_mad_co_u64_u32 v[40:41], null, s8, v49, 0
	v_add_nc_u32_e32 v53, 0x168, v52
	v_add_co_u32 v28, vcc_lo, v68, v28
	v_mad_co_u64_u32 v[46:47], null, s9, v46, v[31:32]
	v_mov_b32_e32 v31, v43
	v_mad_co_u64_u32 v[47:48], null, s9, v49, v[41:42]
	s_wait_alu 0xfffd
	v_add_co_ci_u32_e32 v29, vcc_lo, v69, v29, vcc_lo
	v_mad_co_u64_u32 v[48:49], null, s8, v53, 0
	v_add_co_u32 v43, vcc_lo, v68, v44
	v_mad_co_u64_u32 v[50:51], null, s9, v52, v[31:32]
	v_mov_b32_e32 v31, v46
	s_wait_alu 0xfffd
	v_add_co_ci_u32_e32 v44, vcc_lo, v69, v45, vcc_lo
	v_mov_b32_e32 v41, v47
	s_clause 0x1
	global_store_b128 v[28:29], v[114:117], off
	global_store_b128 v[43:44], v[36:39], off
	v_lshlrev_b64_e32 v[29:30], 4, v[30:31]
	v_dual_mov_b32 v28, v49 :: v_dual_mov_b32 v43, v50
	v_lshlrev_b64_e32 v[36:37], 4, v[40:41]
	v_add_nc_u32_e32 v40, 0x2d0, v52
	v_add_f64_e32 v[102:103], v[150:151], v[210:211]
	s_delay_alu instid0(VALU_DEP_4)
	v_mad_co_u64_u32 v[38:39], null, s9, v53, v[28:29]
	v_add_co_u32 v28, vcc_lo, v68, v29
	s_wait_alu 0xfffd
	v_add_co_ci_u32_e32 v29, vcc_lo, v69, v30, vcc_lo
	v_lshlrev_b64_e32 v[30:31], 4, v[42:43]
	v_add_co_u32 v36, vcc_lo, v68, v36
	s_wait_alu 0xfffd
	v_add_co_ci_u32_e32 v37, vcc_lo, v69, v37, vcc_lo
	v_mov_b32_e32 v49, v38
	s_delay_alu instid0(VALU_DEP_4)
	v_add_co_u32 v30, vcc_lo, v68, v30
	v_mad_co_u64_u32 v[38:39], null, s8, v40, 0
	s_wait_alu 0xfffd
	v_add_co_ci_u32_e32 v31, vcc_lo, v69, v31, vcc_lo
	s_clause 0x1
	global_store_b128 v[28:29], v[110:113], off
	global_store_b128 v[36:37], v[106:109], off
	v_add_nc_u32_e32 v36, 0x438, v52
	v_add_f64_e32 v[100:101], v[142:143], v[192:193]
	global_store_b128 v[30:31], v[32:35], off
	v_mov_b32_e32 v30, v39
	v_add_f64_e32 v[98:99], v[146:147], v[235:236]
	v_mad_co_u64_u32 v[31:32], null, s8, v36, 0
	v_add_nc_u32_e32 v42, 0x5a0, v52
	v_add_nc_u32_e32 v43, 0x708, v52
	v_lshlrev_b64_e32 v[28:29], 4, v[48:49]
	v_add_f64_e64 v[96:97], v[144:145], -v[195:196]
	v_add_f64_e64 v[94:95], v[150:151], -v[210:211]
	;; [unrolled: 1-line block ×3, first 2 shown]
	v_mad_co_u64_u32 v[33:34], null, s9, v40, v[30:31]
	v_mov_b32_e32 v30, v32
	v_lshrrev_b32_e32 v32, 3, v168
	v_mad_co_u64_u32 v[34:35], null, s8, v42, 0
	v_mad_co_u64_u32 v[40:41], null, s8, v43, 0
	s_delay_alu instid0(VALU_DEP_4)
	v_mad_co_u64_u32 v[36:37], null, s9, v36, v[30:31]
	v_mov_b32_e32 v39, v33
	v_mul_hi_u32 v33, 0x16c16c17, v32
	v_add_co_u32 v28, vcc_lo, v68, v28
	v_mov_b32_e32 v30, v35
	s_wait_alu 0xfffd
	v_add_co_ci_u32_e32 v29, vcc_lo, v69, v29, vcc_lo
	v_mov_b32_e32 v32, v36
	v_add_f64_e64 v[90:91], v[146:147], -v[235:236]
	v_lshrrev_b32_e32 v33, 2, v33
	v_mad_co_u64_u32 v[35:36], null, s9, v42, v[30:31]
	s_delay_alu instid0(VALU_DEP_4)
	v_lshlrev_b64_e32 v[31:32], 4, v[31:32]
	v_mov_b32_e32 v30, v41
	global_store_b128 v[28:29], v[102:105], off
	v_lshlrev_b64_e32 v[28:29], 4, v[38:39]
	v_mad_u32_u24 v39, 0x708, v33, v168
	v_mad_co_u64_u32 v[36:37], null, s9, v43, v[30:31]
	s_delay_alu instid0(VALU_DEP_2) | instskip(NEXT) | instid1(VALU_DEP_4)
	v_mad_co_u64_u32 v[37:38], null, s8, v39, 0
	v_add_co_u32 v28, vcc_lo, v68, v28
	s_wait_alu 0xfffd
	v_add_co_ci_u32_e32 v29, vcc_lo, v69, v29, vcc_lo
	v_add_co_u32 v30, vcc_lo, v68, v31
	s_wait_alu 0xfffd
	v_add_co_ci_u32_e32 v31, vcc_lo, v69, v32, vcc_lo
	global_store_b128 v[28:29], v[98:101], off
	v_mov_b32_e32 v28, v38
	v_lshlrev_b64_e32 v[32:33], 4, v[34:35]
	global_store_b128 v[30:31], v[24:27], off
	v_mov_b32_e32 v41, v36
	v_add_nc_u32_e32 v35, 0x2d0, v39
	v_mad_co_u64_u32 v[26:27], null, s9, v39, v[28:29]
	v_add_co_u32 v27, vcc_lo, v68, v32
	s_wait_alu 0xfffd
	v_add_co_ci_u32_e32 v28, vcc_lo, v69, v33, vcc_lo
	v_add_nc_u32_e32 v33, 0x168, v39
	v_lshlrev_b64_e32 v[24:25], 4, v[40:41]
	v_add_nc_u32_e32 v36, 0x438, v39
	v_mov_b32_e32 v38, v26
	global_store_b128 v[27:28], v[94:97], off
	v_mad_co_u64_u32 v[29:30], null, s8, v33, 0
	v_add_co_u32 v24, vcc_lo, v68, v24
	s_wait_alu 0xfffd
	v_add_co_ci_u32_e32 v25, vcc_lo, v69, v25, vcc_lo
	v_mad_co_u64_u32 v[26:27], null, s8, v35, 0
	s_delay_alu instid0(VALU_DEP_4)
	v_mov_b32_e32 v28, v30
	v_mad_co_u64_u32 v[31:32], null, s8, v36, 0
	global_store_b128 v[24:25], v[90:93], off
	v_lshlrev_b64_e32 v[24:25], 4, v[37:38]
	v_mad_co_u64_u32 v[33:34], null, s9, v33, v[28:29]
	v_add_nc_u32_e32 v40, 0x5a0, v39
	v_mad_co_u64_u32 v[27:28], null, s9, v35, v[27:28]
	v_mov_b32_e32 v28, v32
	v_add_co_u32 v24, vcc_lo, v68, v24
	s_delay_alu instid0(VALU_DEP_4)
	v_mad_co_u64_u32 v[34:35], null, s8, v40, 0
	v_add_nc_u32_e32 v39, 0x708, v39
	s_wait_alu 0xfffd
	v_add_co_ci_u32_e32 v25, vcc_lo, v69, v25, vcc_lo
	v_mov_b32_e32 v30, v33
	v_mad_co_u64_u32 v[36:37], null, s9, v36, v[28:29]
	v_mad_co_u64_u32 v[37:38], null, s8, v39, 0
	global_store_b128 v[24:25], v[4:7], off
	v_lshlrev_b64_e32 v[5:6], 4, v[29:30]
	v_mov_b32_e32 v4, v35
	v_mov_b32_e32 v32, v36
	s_delay_alu instid0(VALU_DEP_2)
	v_mad_co_u64_u32 v[24:25], null, s9, v40, v[4:5]
	v_mov_b32_e32 v4, v38
	v_add_co_u32 v5, vcc_lo, v68, v5
	v_lshlrev_b64_e32 v[25:26], 4, v[26:27]
	s_wait_alu 0xfffd
	v_add_co_ci_u32_e32 v6, vcc_lo, v69, v6, vcc_lo
	s_delay_alu instid0(VALU_DEP_3)
	v_mad_co_u64_u32 v[27:28], null, s9, v39, v[4:5]
	v_lshlrev_b64_e32 v[28:29], 4, v[31:32]
	v_mov_b32_e32 v35, v24
	v_add_co_u32 v24, vcc_lo, v68, v25
	s_wait_alu 0xfffd
	v_add_co_ci_u32_e32 v25, vcc_lo, v69, v26, vcc_lo
	v_mov_b32_e32 v38, v27
	v_lshlrev_b64_e32 v[30:31], 4, v[34:35]
	v_add_co_u32 v26, vcc_lo, v68, v28
	s_wait_alu 0xfffd
	v_add_co_ci_u32_e32 v27, vcc_lo, v69, v29, vcc_lo
	v_lshlrev_b64_e32 v[28:29], 4, v[37:38]
	s_delay_alu instid0(VALU_DEP_4) | instskip(SKIP_2) | instid1(VALU_DEP_3)
	v_add_co_u32 v30, vcc_lo, v68, v30
	s_wait_alu 0xfffd
	v_add_co_ci_u32_e32 v31, vcc_lo, v69, v31, vcc_lo
	v_add_co_u32 v28, vcc_lo, v68, v28
	s_wait_alu 0xfffd
	v_add_co_ci_u32_e32 v29, vcc_lo, v69, v29, vcc_lo
	s_clause 0x4
	global_store_b128 v[5:6], v[20:23], off
	global_store_b128 v[24:25], v[16:19], off
	;; [unrolled: 1-line block ×5, first 2 shown]
.LBB0_21:
	s_nop 0
	s_sendmsg sendmsg(MSG_DEALLOC_VGPRS)
	s_endpgm
	.section	.rodata,"a",@progbits
	.p2align	6, 0x0
	.amdhsa_kernel fft_rtc_fwd_len2160_factors_10_6_6_6_wgs_60_tpt_60_halfLds_dp_ip_CI_sbrr_dirReg
		.amdhsa_group_segment_fixed_size 0
		.amdhsa_private_segment_fixed_size 36
		.amdhsa_kernarg_size 88
		.amdhsa_user_sgpr_count 2
		.amdhsa_user_sgpr_dispatch_ptr 0
		.amdhsa_user_sgpr_queue_ptr 0
		.amdhsa_user_sgpr_kernarg_segment_ptr 1
		.amdhsa_user_sgpr_dispatch_id 0
		.amdhsa_user_sgpr_private_segment_size 0
		.amdhsa_wavefront_size32 1
		.amdhsa_uses_dynamic_stack 0
		.amdhsa_enable_private_segment 1
		.amdhsa_system_sgpr_workgroup_id_x 1
		.amdhsa_system_sgpr_workgroup_id_y 0
		.amdhsa_system_sgpr_workgroup_id_z 0
		.amdhsa_system_sgpr_workgroup_info 0
		.amdhsa_system_vgpr_workitem_id 0
		.amdhsa_next_free_vgpr 256
		.amdhsa_next_free_sgpr 35
		.amdhsa_reserve_vcc 1
		.amdhsa_float_round_mode_32 0
		.amdhsa_float_round_mode_16_64 0
		.amdhsa_float_denorm_mode_32 3
		.amdhsa_float_denorm_mode_16_64 3
		.amdhsa_fp16_overflow 0
		.amdhsa_workgroup_processor_mode 1
		.amdhsa_memory_ordered 1
		.amdhsa_forward_progress 0
		.amdhsa_round_robin_scheduling 0
		.amdhsa_exception_fp_ieee_invalid_op 0
		.amdhsa_exception_fp_denorm_src 0
		.amdhsa_exception_fp_ieee_div_zero 0
		.amdhsa_exception_fp_ieee_overflow 0
		.amdhsa_exception_fp_ieee_underflow 0
		.amdhsa_exception_fp_ieee_inexact 0
		.amdhsa_exception_int_div_zero 0
	.end_amdhsa_kernel
	.text
.Lfunc_end0:
	.size	fft_rtc_fwd_len2160_factors_10_6_6_6_wgs_60_tpt_60_halfLds_dp_ip_CI_sbrr_dirReg, .Lfunc_end0-fft_rtc_fwd_len2160_factors_10_6_6_6_wgs_60_tpt_60_halfLds_dp_ip_CI_sbrr_dirReg
                                        ; -- End function
	.section	.AMDGPU.csdata,"",@progbits
; Kernel info:
; codeLenInByte = 24268
; NumSgprs: 37
; NumVgprs: 256
; ScratchSize: 36
; MemoryBound: 1
; FloatMode: 240
; IeeeMode: 1
; LDSByteSize: 0 bytes/workgroup (compile time only)
; SGPRBlocks: 4
; VGPRBlocks: 31
; NumSGPRsForWavesPerEU: 37
; NumVGPRsForWavesPerEU: 256
; Occupancy: 5
; WaveLimiterHint : 1
; COMPUTE_PGM_RSRC2:SCRATCH_EN: 1
; COMPUTE_PGM_RSRC2:USER_SGPR: 2
; COMPUTE_PGM_RSRC2:TRAP_HANDLER: 0
; COMPUTE_PGM_RSRC2:TGID_X_EN: 1
; COMPUTE_PGM_RSRC2:TGID_Y_EN: 0
; COMPUTE_PGM_RSRC2:TGID_Z_EN: 0
; COMPUTE_PGM_RSRC2:TIDIG_COMP_CNT: 0
	.text
	.p2alignl 7, 3214868480
	.fill 96, 4, 3214868480
	.type	__hip_cuid_9f673f7f50bc7190,@object ; @__hip_cuid_9f673f7f50bc7190
	.section	.bss,"aw",@nobits
	.globl	__hip_cuid_9f673f7f50bc7190
__hip_cuid_9f673f7f50bc7190:
	.byte	0                               ; 0x0
	.size	__hip_cuid_9f673f7f50bc7190, 1

	.ident	"AMD clang version 19.0.0git (https://github.com/RadeonOpenCompute/llvm-project roc-6.4.0 25133 c7fe45cf4b819c5991fe208aaa96edf142730f1d)"
	.section	".note.GNU-stack","",@progbits
	.addrsig
	.addrsig_sym __hip_cuid_9f673f7f50bc7190
	.amdgpu_metadata
---
amdhsa.kernels:
  - .args:
      - .actual_access:  read_only
        .address_space:  global
        .offset:         0
        .size:           8
        .value_kind:     global_buffer
      - .offset:         8
        .size:           8
        .value_kind:     by_value
      - .actual_access:  read_only
        .address_space:  global
        .offset:         16
        .size:           8
        .value_kind:     global_buffer
      - .actual_access:  read_only
        .address_space:  global
        .offset:         24
        .size:           8
        .value_kind:     global_buffer
      - .offset:         32
        .size:           8
        .value_kind:     by_value
      - .actual_access:  read_only
        .address_space:  global
        .offset:         40
        .size:           8
        .value_kind:     global_buffer
      - .actual_access:  read_only
        .address_space:  global
        .offset:         48
        .size:           8
        .value_kind:     global_buffer
      - .offset:         56
        .size:           4
        .value_kind:     by_value
      - .actual_access:  read_only
        .address_space:  global
        .offset:         64
        .size:           8
        .value_kind:     global_buffer
      - .actual_access:  read_only
        .address_space:  global
        .offset:         72
        .size:           8
        .value_kind:     global_buffer
      - .address_space:  global
        .offset:         80
        .size:           8
        .value_kind:     global_buffer
    .group_segment_fixed_size: 0
    .kernarg_segment_align: 8
    .kernarg_segment_size: 88
    .language:       OpenCL C
    .language_version:
      - 2
      - 0
    .max_flat_workgroup_size: 60
    .name:           fft_rtc_fwd_len2160_factors_10_6_6_6_wgs_60_tpt_60_halfLds_dp_ip_CI_sbrr_dirReg
    .private_segment_fixed_size: 36
    .sgpr_count:     37
    .sgpr_spill_count: 0
    .symbol:         fft_rtc_fwd_len2160_factors_10_6_6_6_wgs_60_tpt_60_halfLds_dp_ip_CI_sbrr_dirReg.kd
    .uniform_work_group_size: 1
    .uses_dynamic_stack: false
    .vgpr_count:     256
    .vgpr_spill_count: 8
    .wavefront_size: 32
    .workgroup_processor_mode: 1
amdhsa.target:   amdgcn-amd-amdhsa--gfx1201
amdhsa.version:
  - 1
  - 2
...

	.end_amdgpu_metadata
